;; amdgpu-corpus repo=ROCm/rocFFT kind=compiled arch=gfx1201 opt=O3
	.text
	.amdgcn_target "amdgcn-amd-amdhsa--gfx1201"
	.amdhsa_code_object_version 6
	.protected	bluestein_single_fwd_len686_dim1_sp_op_CI_CI ; -- Begin function bluestein_single_fwd_len686_dim1_sp_op_CI_CI
	.globl	bluestein_single_fwd_len686_dim1_sp_op_CI_CI
	.p2align	8
	.type	bluestein_single_fwd_len686_dim1_sp_op_CI_CI,@function
bluestein_single_fwd_len686_dim1_sp_op_CI_CI: ; @bluestein_single_fwd_len686_dim1_sp_op_CI_CI
; %bb.0:
	s_load_b128 s[16:19], s[0:1], 0x28
	v_mul_u32_u24_e32 v1, 0x53a, v0
	s_mov_b32 s2, exec_lo
	v_mov_b32_e32 v81, 0
	s_delay_alu instid0(VALU_DEP_2) | instskip(NEXT) | instid1(VALU_DEP_1)
	v_lshrrev_b32_e32 v1, 16, v1
	v_add_nc_u32_e32 v80, ttmp9, v1
	s_wait_kmcnt 0x0
	s_delay_alu instid0(VALU_DEP_1)
	v_cmpx_gt_u64_e64 s[16:17], v[80:81]
	s_cbranch_execz .LBB0_2
; %bb.1:
	s_clause 0x1
	s_load_b128 s[4:7], s[0:1], 0x18
	s_load_b128 s[8:11], s[0:1], 0x0
	v_mul_lo_u16 v1, v1, 49
	s_load_b64 s[0:1], s[0:1], 0x38
	s_delay_alu instid0(VALU_DEP_1) | instskip(NEXT) | instid1(VALU_DEP_1)
	v_sub_nc_u16 v0, v0, v1
	v_and_b32_e32 v101, 0xffff, v0
	v_mul_lo_u16 v34, v0, 7
	s_wait_kmcnt 0x0
	s_load_b128 s[12:15], s[4:5], 0x0
	s_wait_kmcnt 0x0
	v_mad_co_u64_u32 v[1:2], null, s14, v80, 0
	v_mad_co_u64_u32 v[3:4], null, s12, v101, 0
	s_mul_u64 s[2:3], s[12:13], 0x310
	s_mul_i32 s4, s13, 0xffffef28
	s_delay_alu instid0(SALU_CYCLE_1) | instskip(NEXT) | instid1(VALU_DEP_1)
	s_sub_co_i32 s4, s4, s12
	v_mad_co_u64_u32 v[5:6], null, s15, v80, v[2:3]
	s_delay_alu instid0(VALU_DEP_1) | instskip(NEXT) | instid1(VALU_DEP_3)
	v_mov_b32_e32 v2, v5
	v_mad_co_u64_u32 v[6:7], null, s13, v101, v[4:5]
	v_lshlrev_b32_e32 v97, 3, v101
	s_delay_alu instid0(VALU_DEP_3) | instskip(NEXT) | instid1(VALU_DEP_3)
	v_lshlrev_b64_e32 v[1:2], 3, v[1:2]
	v_mov_b32_e32 v4, v6
	s_clause 0x2
	global_load_b64 v[52:53], v97, s[8:9]
	global_load_b64 v[54:55], v97, s[8:9] offset:1568
	global_load_b64 v[56:57], v97, s[8:9] offset:3136
	v_add_co_u32 v1, vcc_lo, s18, v1
	v_add_co_ci_u32_e32 v2, vcc_lo, s19, v2, vcc_lo
	v_lshlrev_b64_e32 v[3:4], 3, v[3:4]
	s_clause 0x4
	global_load_b64 v[58:59], v97, s[8:9] offset:4704
	global_load_b64 v[60:61], v97, s[8:9] offset:1176
	;; [unrolled: 1-line block ×5, first 2 shown]
	v_add_nc_u32_e32 v136, 0x400, v97
	v_add_co_u32 v1, vcc_lo, v1, v3
	s_wait_alu 0xfffd
	v_add_co_ci_u32_e32 v2, vcc_lo, v2, v4, vcc_lo
	s_delay_alu instid0(VALU_DEP_2) | instskip(SKIP_1) | instid1(VALU_DEP_2)
	v_add_co_u32 v3, vcc_lo, v1, s2
	s_wait_alu 0xfffd
	v_add_co_ci_u32_e32 v4, vcc_lo, s3, v2, vcc_lo
	global_load_b64 v[1:2], v[1:2], off
	v_add_co_u32 v5, vcc_lo, v3, s2
	s_wait_alu 0xfffd
	v_add_co_ci_u32_e32 v6, vcc_lo, s3, v4, vcc_lo
	global_load_b64 v[3:4], v[3:4], off
	;; [unrolled: 4-line block ×3, first 2 shown]
	v_add_co_u32 v9, vcc_lo, v7, s2
	s_wait_alu 0xfffd
	v_add_co_ci_u32_e32 v10, vcc_lo, s3, v8, vcc_lo
	v_and_b32_e32 v37, 0xffff, v34
	s_delay_alu instid0(VALU_DEP_3) | instskip(SKIP_1) | instid1(VALU_DEP_3)
	v_add_co_u32 v11, vcc_lo, v9, s2
	s_wait_alu 0xfffd
	v_add_co_ci_u32_e32 v12, vcc_lo, s3, v10, vcc_lo
	s_clause 0x1
	global_load_b64 v[7:8], v[7:8], off
	global_load_b64 v[9:10], v[9:10], off
	global_load_b64 v[70:71], v97, s[8:9] offset:2352
	v_add_co_u32 v13, vcc_lo, v11, s2
	s_wait_alu 0xfffd
	v_add_co_ci_u32_e32 v14, vcc_lo, s3, v12, vcc_lo
	s_clause 0x3
	global_load_b64 v[68:69], v97, s[8:9] offset:1960
	global_load_b64 v[72:73], v97, s[8:9] offset:4312
	global_load_b64 v[76:77], v97, s[8:9] offset:3920
	global_load_b64 v[74:75], v97, s[8:9] offset:3528
	global_load_b64 v[11:12], v[11:12], off
	v_mad_co_u64_u32 v[15:16], null, 0xffffef28, s12, v[13:14]
	global_load_b64 v[13:14], v[13:14], off
	v_add_nc_u32_e32 v98, 0x800, v97
	v_add_nc_u32_e32 v16, s4, v16
	v_add_co_u32 v17, vcc_lo, v15, s2
	s_wait_alu 0xfffd
	s_delay_alu instid0(VALU_DEP_2) | instskip(NEXT) | instid1(VALU_DEP_2)
	v_add_co_ci_u32_e32 v18, vcc_lo, s3, v16, vcc_lo
	v_add_co_u32 v19, vcc_lo, v17, s2
	global_load_b64 v[15:16], v[15:16], off
	s_wait_alu 0xfffd
	v_add_co_ci_u32_e32 v20, vcc_lo, s3, v18, vcc_lo
	v_add_co_u32 v21, vcc_lo, v19, s2
	global_load_b64 v[17:18], v[17:18], off
	s_wait_alu 0xfffd
	;; [unrolled: 4-line block ×3, first 2 shown]
	v_add_co_ci_u32_e32 v24, vcc_lo, s3, v22, vcc_lo
	v_add_co_u32 v25, vcc_lo, v23, s2
	global_load_b64 v[21:22], v[21:22], off
	global_load_b64 v[27:28], v[23:24], off
	s_wait_alu 0xfffd
	v_add_co_ci_u32_e32 v26, vcc_lo, s3, v24, vcc_lo
	v_add_co_u32 v23, vcc_lo, v25, s2
	s_wait_alu 0xfffd
	s_delay_alu instid0(VALU_DEP_2)
	v_add_co_ci_u32_e32 v24, vcc_lo, s3, v26, vcc_lo
	global_load_b64 v[29:30], v[25:26], off
	global_load_b64 v[78:79], v97, s[8:9] offset:5096
	global_load_b64 v[31:32], v[23:24], off
	v_and_b32_e32 v23, 0xff, v0
	v_add_co_u32 v26, null, v101, 49
	s_load_b128 s[4:7], s[6:7], 0x0
	s_add_nc_u64 s[2:3], s[8:9], 0x1570
	s_delay_alu instid0(VALU_DEP_2) | instskip(NEXT) | instid1(VALU_DEP_2)
	v_mul_lo_u16 v23, v23, 37
	v_and_b32_e32 v24, 0xff, v26
	s_delay_alu instid0(VALU_DEP_2) | instskip(NEXT) | instid1(VALU_DEP_2)
	v_lshrrev_b16 v23, 8, v23
	v_mul_lo_u16 v24, v24, 37
	s_delay_alu instid0(VALU_DEP_2) | instskip(NEXT) | instid1(VALU_DEP_2)
	v_sub_nc_u16 v25, v0, v23
	v_lshrrev_b16 v24, 8, v24
	s_delay_alu instid0(VALU_DEP_2) | instskip(NEXT) | instid1(VALU_DEP_2)
	v_lshrrev_b16 v25, 1, v25
	v_sub_nc_u16 v33, v26, v24
	s_delay_alu instid0(VALU_DEP_2) | instskip(NEXT) | instid1(VALU_DEP_2)
	v_and_b32_e32 v25, 0x7f, v25
	v_lshrrev_b16 v33, 1, v33
	s_delay_alu instid0(VALU_DEP_2) | instskip(NEXT) | instid1(VALU_DEP_1)
	v_add_nc_u16 v23, v25, v23
	v_lshrrev_b16 v25, 2, v23
	s_delay_alu instid0(VALU_DEP_3) | instskip(NEXT) | instid1(VALU_DEP_2)
	v_and_b32_e32 v23, 0x7f, v33
	v_mul_lo_u16 v33, v25, 7
	s_delay_alu instid0(VALU_DEP_2) | instskip(SKIP_1) | instid1(VALU_DEP_3)
	v_add_nc_u16 v23, v23, v24
	v_and_b32_e32 v25, 0xffff, v25
	v_sub_nc_u16 v38, v0, v33
	s_delay_alu instid0(VALU_DEP_3) | instskip(NEXT) | instid1(VALU_DEP_3)
	v_lshrrev_b16 v24, 2, v23
	v_mul_u32_u24_e32 v25, 49, v25
	s_wait_loadcnt 0x13
	v_mul_f32_e32 v0, v2, v53
	v_mul_f32_e32 v23, v1, v53
	s_wait_loadcnt 0x12
	v_mul_f32_e32 v33, v4, v65
	v_mul_f32_e32 v34, v3, v65
	v_add_nc_u32_e32 v100, 0xc00, v97
	v_fmac_f32_e32 v0, v1, v52
	v_fma_f32 v1, v2, v52, -v23
	v_fmac_f32_e32 v33, v3, v64
	s_wait_loadcnt 0x11
	v_mul_f32_e32 v35, v6, v55
	v_mul_f32_e32 v3, v5, v55
	v_fma_f32 v34, v4, v64, -v34
	v_lshlrev_b32_e32 v105, 3, v37
	s_wait_loadcnt 0xf
	v_dual_fmac_f32 v35, v5, v54 :: v_dual_mul_f32 v4, v10, v57
	s_wait_loadcnt 0xe
	v_mul_f32_e32 v2, v8, v71
	v_mul_f32_e32 v5, v7, v71
	v_fma_f32 v36, v6, v54, -v3
	v_dual_fmac_f32 v4, v9, v56 :: v_dual_add_nc_u32 v99, 0x1000, v97
	s_delay_alu instid0(VALU_DEP_4) | instskip(NEXT) | instid1(VALU_DEP_4)
	v_fmac_f32_e32 v2, v7, v70
	v_fma_f32 v3, v8, v70, -v5
	s_wait_loadcnt 0x9
	v_mul_f32_e32 v6, v12, v77
	v_mul_f32_e32 v23, v9, v57
	;; [unrolled: 1-line block ×3, first 2 shown]
	s_delay_alu instid0(VALU_DEP_3) | instskip(NEXT) | instid1(VALU_DEP_3)
	v_fmac_f32_e32 v6, v11, v76
	v_fma_f32 v5, v10, v56, -v23
	ds_store_b64 v97, v[33:34] offset:784
	ds_store_b64 v97, v[35:36] offset:1568
	;; [unrolled: 1-line block ×4, first 2 shown]
	s_wait_loadcnt 0x8
	v_mul_f32_e32 v2, v14, v59
	v_fma_f32 v7, v12, v76, -v7
	s_delay_alu instid0(VALU_DEP_2) | instskip(SKIP_3) | instid1(VALU_DEP_2)
	v_fmac_f32_e32 v2, v13, v58
	s_wait_loadcnt 0x7
	v_mul_f32_e32 v4, v16, v63
	v_mul_f32_e32 v5, v15, v63
	v_dual_mul_f32 v3, v13, v59 :: v_dual_fmac_f32 v4, v15, v62
	s_delay_alu instid0(VALU_DEP_2) | instskip(NEXT) | instid1(VALU_DEP_2)
	v_fma_f32 v5, v16, v62, -v5
	v_fma_f32 v3, v14, v58, -v3
	ds_store_b64 v97, v[6:7] offset:3920
	ds_store_b64 v97, v[2:3] offset:4704
	ds_store_2addr_b64 v97, v[0:1], v[4:5] offset1:49
	s_wait_loadcnt 0x6
	v_mul_f32_e32 v2, v17, v61
	s_wait_loadcnt 0x4
	v_dual_mul_f32 v8, v18, v61 :: v_dual_mul_f32 v3, v21, v67
	s_wait_loadcnt 0x3
	v_mul_f32_e32 v4, v28, v75
	v_mul_f32_e32 v5, v27, v75
	;; [unrolled: 1-line block ×3, first 2 shown]
	v_fma_f32 v9, v18, v60, -v2
	v_mul_f32_e32 v2, v22, v67
	v_fmac_f32_e32 v4, v27, v74
	v_mul_lo_u16 v27, v24, 7
	v_fma_f32 v5, v28, v74, -v5
	v_mul_u32_u24_e32 v28, 7, v26
	s_wait_loadcnt 0x0
	v_dual_fmac_f32 v8, v17, v60 :: v_dual_mul_f32 v11, v31, v79
	v_sub_nc_u16 v26, v26, v27
	v_mul_f32_e32 v0, v20, v69
	v_mul_f32_e32 v6, v30, v73
	v_dual_mul_f32 v7, v29, v73 :: v_dual_mul_f32 v10, v32, v79
	v_fma_f32 v1, v20, v68, -v1
	s_delay_alu instid0(VALU_DEP_4)
	v_dual_fmac_f32 v0, v19, v68 :: v_dual_and_b32 v47, 0xff, v26
	v_fmac_f32_e32 v2, v21, v66
	v_fma_f32 v3, v22, v66, -v3
	v_fmac_f32_e32 v6, v29, v72
	v_fma_f32 v7, v30, v72, -v7
	;; [unrolled: 2-line block ×3, first 2 shown]
	ds_store_b64 v97, v[8:9] offset:1176
	ds_store_b64 v97, v[0:1] offset:1960
	;; [unrolled: 1-line block ×6, first 2 shown]
	global_wb scope:SCOPE_SE
	s_wait_dscnt 0x0
	s_wait_kmcnt 0x0
	s_barrier_signal -1
	s_barrier_wait -1
	global_inv scope:SCOPE_SE
	ds_load_2addr_b64 v[0:3], v97 offset0:98 offset1:147
	ds_load_2addr_b64 v[4:7], v99 offset0:76 offset1:125
	;; [unrolled: 1-line block ×6, first 2 shown]
	v_and_b32_e32 v46, 0xff, v38
	v_lshlrev_b32_e32 v104, 3, v28
	s_wait_dscnt 0x4
	v_add_f32_e32 v32, v1, v5
	v_sub_f32_e32 v1, v1, v5
	s_wait_dscnt 0x2
	v_add_f32_e32 v5, v9, v13
	v_sub_f32_e32 v9, v9, v13
	;; [unrolled: 3-line block ×3, first 2 shown]
	v_mul_u32_u24_e32 v29, 6, v46
	v_add_f32_e32 v21, v3, v7
	v_sub_f32_e32 v3, v3, v7
	v_add_f32_e32 v7, v11, v15
	v_sub_f32_e32 v11, v11, v15
	v_dual_add_f32 v15, v19, v23 :: v_dual_lshlrev_b32 v30, 3, v29
	ds_load_2addr_b64 v[26:29], v97 offset1:49
	v_add_f32_e32 v31, v0, v4
	v_dual_sub_f32 v0, v0, v4 :: v_dual_sub_f32 v19, v23, v19
	v_add_f32_e32 v4, v8, v12
	v_sub_f32_e32 v8, v8, v12
	v_add_f32_e32 v12, v16, v20
	v_sub_f32_e32 v16, v20, v16
	v_dual_add_f32 v20, v2, v6 :: v_dual_add_f32 v23, v5, v32
	v_sub_f32_e32 v34, v5, v32
	v_dual_sub_f32 v5, v13, v5 :: v_dual_sub_f32 v2, v2, v6
	v_dual_sub_f32 v33, v4, v31 :: v_dual_add_f32 v36, v17, v9
	v_sub_f32_e32 v38, v17, v9
	v_sub_f32_e32 v17, v1, v17
	v_dual_sub_f32 v9, v9, v1 :: v_dual_add_f32 v6, v10, v14
	v_add_f32_e32 v40, v7, v21
	v_dual_sub_f32 v42, v7, v21 :: v_dual_sub_f32 v21, v21, v15
	v_dual_sub_f32 v10, v10, v14 :: v_dual_add_f32 v35, v16, v8
	v_dual_add_f32 v14, v18, v22 :: v_dual_sub_f32 v37, v16, v8
	v_dual_sub_f32 v18, v22, v18 :: v_dual_sub_f32 v7, v15, v7
	v_dual_add_f32 v22, v4, v31 :: v_dual_sub_f32 v31, v31, v12
	v_dual_add_f32 v39, v6, v20 :: v_dual_sub_f32 v32, v32, v13
	v_sub_f32_e32 v41, v6, v20
	s_delay_alu instid0(VALU_DEP_4)
	v_dual_add_f32 v43, v18, v10 :: v_dual_sub_f32 v4, v12, v4
	v_dual_sub_f32 v45, v18, v10 :: v_dual_sub_f32 v16, v0, v16
	v_dual_add_f32 v13, v13, v23 :: v_dual_sub_f32 v20, v20, v14
	v_dual_mul_f32 v37, 0xbf08b237, v37 :: v_dual_add_f32 v44, v19, v11
	v_dual_mul_f32 v21, 0x3f4a47b2, v21 :: v_dual_sub_f32 v48, v19, v11
	v_dual_sub_f32 v19, v3, v19 :: v_dual_sub_f32 v6, v14, v6
	v_dual_add_f32 v23, v36, v1 :: v_dual_mul_f32 v32, 0x3f4a47b2, v32
	v_dual_add_f32 v14, v14, v39 :: v_dual_add_f32 v39, v43, v2
	v_mul_f32_e32 v36, 0x3d64c772, v5
	v_dual_sub_f32 v8, v8, v0 :: v_dual_mul_f32 v31, 0x3f4a47b2, v31
	v_dual_sub_f32 v10, v10, v2 :: v_dual_mul_f32 v45, 0xbf08b237, v45
	v_dual_sub_f32 v11, v11, v3 :: v_dual_add_f32 v12, v12, v22
	s_delay_alu instid0(VALU_DEP_2)
	v_dual_add_f32 v22, v35, v0 :: v_dual_mul_f32 v51, 0xbf5ff5aa, v10
	v_dual_mul_f32 v35, 0x3d64c772, v4 :: v_dual_sub_f32 v18, v2, v18
	v_dual_add_f32 v15, v15, v40 :: v_dual_mul_f32 v38, 0xbf08b237, v38
	s_wait_dscnt 0x0
	v_add_f32_e32 v1, v27, v13
	v_mul_f32_e32 v43, 0x3d64c772, v6
	v_fmamk_f32 v5, v5, 0x3d64c772, v32
	v_fma_f32 v27, 0x3f3bfb3b, v34, -v36
	v_mul_f32_e32 v48, 0xbf08b237, v48
	v_dual_mul_f32 v49, 0xbf5ff5aa, v8 :: v_dual_mul_f32 v50, 0xbf5ff5aa, v9
	v_add_f32_e32 v40, v44, v3
	v_mul_f32_e32 v81, 0xbf5ff5aa, v11
	v_fma_f32 v32, 0xbf3bfb3b, v34, -v32
	s_delay_alu instid0(VALU_DEP_4)
	v_fmac_f32_e32 v49, 0xbeae86e6, v16
	v_fmamk_f32 v34, v17, 0x3eae86e6, v38
	v_fma_f32 v36, 0x3f5ff5aa, v9, -v38
	v_add_f32_e32 v3, v29, v15
	v_fmamk_f32 v29, v18, 0x3eae86e6, v45
	v_fma_f32 v38, 0x3f5ff5aa, v11, -v48
	v_fmamk_f32 v11, v13, 0xbf955555, v1
	v_mul_f32_e32 v20, 0x3f4a47b2, v20
	v_dual_mul_f32 v44, 0x3d64c772, v7 :: v_dual_fmamk_f32 v7, v7, 0x3d64c772, v21
	v_dual_add_f32 v0, v26, v12 :: v_dual_fmac_f32 v51, 0xbeae86e6, v18
	v_fma_f32 v26, 0x3f3bfb3b, v33, -v35
	v_dual_fmac_f32 v50, 0xbeae86e6, v17 :: v_dual_fmac_f32 v81, 0xbeae86e6, v19
	v_fma_f32 v17, 0xbf3bfb3b, v42, -v21
	v_fmamk_f32 v13, v15, 0xbf955555, v3
	v_dual_add_f32 v15, v5, v11 :: v_dual_fmamk_f32 v6, v6, 0x3d64c772, v20
	v_add_f32_e32 v21, v32, v11
	v_fmamk_f32 v4, v4, 0x3d64c772, v31
	v_fma_f32 v31, 0xbf3bfb3b, v33, -v31
	v_fmamk_f32 v33, v16, 0x3eae86e6, v37
	v_dual_add_f32 v2, v28, v14 :: v_dual_fmac_f32 v29, 0x3ee1c552, v39
	v_fma_f32 v35, 0x3f5ff5aa, v8, -v37
	v_fma_f32 v37, 0x3f5ff5aa, v10, -v45
	v_fmamk_f32 v10, v12, 0xbf955555, v0
	s_delay_alu instid0(VALU_DEP_4)
	v_fmamk_f32 v12, v14, 0xbf955555, v2
	v_fma_f32 v9, 0x3f3bfb3b, v42, -v44
	v_fmamk_f32 v28, v19, 0x3eae86e6, v48
	v_fma_f32 v8, 0x3f3bfb3b, v41, -v43
	v_fma_f32 v16, 0xbf3bfb3b, v41, -v20
	v_dual_fmac_f32 v33, 0x3ee1c552, v22 :: v_dual_fmac_f32 v34, 0x3ee1c552, v23
	v_dual_fmac_f32 v49, 0x3ee1c552, v22 :: v_dual_fmac_f32 v50, 0x3ee1c552, v23
	v_add_f32_e32 v19, v27, v11
	v_dual_add_f32 v27, v17, v13 :: v_dual_add_f32 v20, v31, v10
	v_dual_add_f32 v31, v6, v12 :: v_dual_add_f32 v14, v4, v10
	v_dual_fmac_f32 v35, 0x3ee1c552, v22 :: v_dual_fmac_f32 v36, 0x3ee1c552, v23
	v_dual_fmac_f32 v81, 0x3ee1c552, v40 :: v_dual_add_f32 v18, v26, v10
	v_add_f32_e32 v32, v7, v13
	v_dual_add_f32 v23, v9, v13 :: v_dual_fmac_f32 v28, 0x3ee1c552, v40
	v_dual_fmac_f32 v37, 0x3ee1c552, v39 :: v_dual_fmac_f32 v38, 0x3ee1c552, v40
	v_dual_fmac_f32 v51, 0x3ee1c552, v39 :: v_dual_add_f32 v22, v8, v12
	v_dual_sub_f32 v5, v15, v33 :: v_dual_add_f32 v26, v16, v12
	v_dual_add_f32 v9, v35, v19 :: v_dual_add_f32 v4, v14, v34
	v_sub_f32_e32 v11, v19, v35
	v_dual_sub_f32 v7, v21, v49 :: v_dual_add_f32 v6, v50, v20
	v_add_f32_e32 v13, v49, v21
	v_dual_add_f32 v15, v33, v15 :: v_dual_sub_f32 v8, v18, v36
	v_sub_f32_e32 v17, v32, v29
	v_dual_add_f32 v10, v36, v18 :: v_dual_sub_f32 v19, v27, v51
	v_dual_sub_f32 v12, v20, v50 :: v_dual_add_f32 v21, v37, v23
	v_dual_sub_f32 v14, v14, v34 :: v_dual_sub_f32 v23, v23, v37
	v_add_f32_e32 v16, v31, v28
	global_wb scope:SCOPE_SE
	s_barrier_signal -1
	s_barrier_wait -1
	global_inv scope:SCOPE_SE
	v_dual_add_f32 v18, v81, v26 :: v_dual_add_f32 v27, v51, v27
	v_dual_sub_f32 v20, v22, v38 :: v_dual_add_f32 v29, v29, v32
	v_add_f32_e32 v22, v38, v22
	v_sub_f32_e32 v26, v26, v81
	v_sub_f32_e32 v28, v31, v28
	ds_store_2addr_b64 v105, v[0:1], v[4:5] offset1:1
	ds_store_2addr_b64 v105, v[6:7], v[8:9] offset0:2 offset1:3
	ds_store_2addr_b64 v105, v[10:11], v[12:13] offset0:4 offset1:5
	ds_store_b64 v105, v[14:15] offset:48
	ds_store_2addr_b64 v104, v[2:3], v[16:17] offset1:1
	ds_store_2addr_b64 v104, v[18:19], v[20:21] offset0:2 offset1:3
	ds_store_2addr_b64 v104, v[22:23], v[26:27] offset0:4 offset1:5
	ds_store_b64 v104, v[28:29] offset:48
	v_mul_u32_u24_e32 v0, 6, v47
	global_wb scope:SCOPE_SE
	s_wait_dscnt 0x0
	s_barrier_signal -1
	s_barrier_wait -1
	global_inv scope:SCOPE_SE
	s_clause 0x1
	global_load_b128 v[20:23], v30, s[10:11]
	global_load_b128 v[8:11], v30, s[10:11] offset:16
	v_lshlrev_b32_e32 v4, 3, v0
	s_clause 0x3
	global_load_b128 v[0:3], v30, s[10:11] offset:32
	global_load_b128 v[16:19], v4, s[10:11]
	global_load_b128 v[12:15], v4, s[10:11] offset:16
	global_load_b128 v[4:7], v4, s[10:11] offset:32
	ds_load_2addr_b64 v[26:29], v97 offset0:98 offset1:147
	ds_load_2addr_b64 v[30:33], v97 offset0:196 offset1:245
	ds_load_2addr_b64 v[34:37], v98 offset0:38 offset1:87
	ds_load_2addr_b64 v[38:41], v98 offset0:136 offset1:185
	ds_load_2addr_b64 v[42:45], v100 offset0:106 offset1:155
	ds_load_2addr_b64 v[81:84], v99 offset0:76 offset1:125
	v_and_b32_e32 v24, 0xffff, v24
	v_add_lshl_u32 v103, v25, v46, 3
	ds_load_2addr_b64 v[85:88], v97 offset1:49
	v_mad_co_u64_u32 v[48:49], null, v101, 48, s[10:11]
	global_wb scope:SCOPE_SE
	s_wait_loadcnt_dscnt 0x0
	s_barrier_signal -1
	s_barrier_wait -1
	global_inv scope:SCOPE_SE
	v_mul_f32_e32 v25, v26, v21
	v_mul_f32_e32 v51, v34, v9
	v_mul_u32_u24_e32 v24, 49, v24
	v_dual_mul_f32 v46, v31, v23 :: v_dual_mul_f32 v95, v29, v17
	v_dual_mul_f32 v50, v35, v9 :: v_dual_mul_f32 v111, v40, v15
	s_delay_alu instid0(VALU_DEP_3)
	v_add_lshl_u32 v102, v24, v47, 3
	v_dual_mul_f32 v24, v27, v21 :: v_dual_mul_f32 v93, v82, v3
	v_mul_f32_e32 v47, v30, v23
	v_mul_f32_e32 v89, v39, v11
	v_dual_mul_f32 v90, v38, v11 :: v_dual_mul_f32 v91, v43, v1
	v_dual_mul_f32 v92, v42, v1 :: v_dual_mul_f32 v115, v83, v7
	;; [unrolled: 1-line block ×3, first 2 shown]
	v_dual_mul_f32 v96, v28, v17 :: v_dual_fmac_f32 v25, v27, v20
	v_dual_mul_f32 v106, v33, v19 :: v_dual_mul_f32 v113, v44, v5
	v_dual_mul_f32 v107, v32, v19 :: v_dual_mul_f32 v108, v37, v13
	v_dual_fmac_f32 v47, v31, v22 :: v_dual_mul_f32 v110, v41, v15
	v_dual_fmac_f32 v51, v35, v8 :: v_dual_mul_f32 v112, v45, v5
	v_fmac_f32_e32 v115, v84, v6
	s_delay_alu instid0(VALU_DEP_4)
	v_dual_mul_f32 v114, v84, v7 :: v_dual_fmac_f32 v107, v33, v18
	v_fma_f32 v24, v26, v20, -v24
	v_fma_f32 v26, v28, v16, -v95
	;; [unrolled: 1-line block ×5, first 2 shown]
	v_dual_fmac_f32 v90, v39, v10 :: v_dual_fmac_f32 v109, v37, v12
	v_fma_f32 v31, v42, v0, -v91
	v_fmac_f32_e32 v96, v29, v16
	v_fma_f32 v29, v34, v8, -v50
	v_dual_fmac_f32 v92, v43, v0 :: v_dual_fmac_f32 v111, v41, v14
	v_fma_f32 v32, v81, v2, -v93
	v_dual_fmac_f32 v94, v82, v2 :: v_dual_fmac_f32 v113, v45, v4
	v_fma_f32 v33, v36, v12, -v108
	v_fma_f32 v34, v40, v14, -v110
	v_fma_f32 v35, v44, v4, -v112
	v_fma_f32 v36, v83, v6, -v114
	v_dual_add_f32 v37, v24, v32 :: v_dual_add_f32 v38, v25, v94
	v_dual_sub_f32 v24, v24, v32 :: v_dual_sub_f32 v25, v25, v94
	v_add_f32_e32 v32, v27, v31
	v_dual_add_f32 v39, v47, v92 :: v_dual_add_f32 v40, v29, v30
	v_sub_f32_e32 v27, v27, v31
	v_sub_f32_e32 v31, v47, v92
	v_dual_add_f32 v41, v51, v90 :: v_dual_add_f32 v42, v26, v36
	v_sub_f32_e32 v29, v30, v29
	v_sub_f32_e32 v30, v90, v51
	v_dual_add_f32 v43, v96, v115 :: v_dual_sub_f32 v26, v26, v36
	v_dual_sub_f32 v36, v96, v115 :: v_dual_add_f32 v45, v107, v113
	v_add_f32_e32 v44, v28, v35
	v_dual_sub_f32 v28, v28, v35 :: v_dual_sub_f32 v35, v107, v113
	v_dual_add_f32 v46, v33, v34 :: v_dual_sub_f32 v81, v32, v37
	v_add_f32_e32 v47, v109, v111
	v_sub_f32_e32 v33, v34, v33
	v_sub_f32_e32 v34, v111, v109
	v_dual_add_f32 v50, v32, v37 :: v_dual_add_f32 v51, v39, v38
	v_dual_sub_f32 v82, v39, v38 :: v_dual_sub_f32 v37, v37, v40
	v_dual_sub_f32 v38, v38, v41 :: v_dual_sub_f32 v39, v41, v39
	v_dual_sub_f32 v32, v40, v32 :: v_dual_add_f32 v83, v29, v27
	v_add_f32_e32 v84, v30, v31
	v_sub_f32_e32 v89, v29, v27
	v_dual_sub_f32 v90, v30, v31 :: v_dual_sub_f32 v27, v27, v24
	v_dual_sub_f32 v29, v24, v29 :: v_dual_sub_f32 v30, v25, v30
	v_sub_f32_e32 v31, v31, v25
	v_dual_add_f32 v91, v44, v42 :: v_dual_add_f32 v92, v45, v43
	v_dual_sub_f32 v93, v44, v42 :: v_dual_sub_f32 v94, v45, v43
	v_dual_sub_f32 v43, v43, v47 :: v_dual_sub_f32 v44, v46, v44
	v_dual_sub_f32 v45, v47, v45 :: v_dual_add_f32 v96, v34, v35
	v_add_f32_e32 v95, v33, v28
	v_dual_sub_f32 v106, v33, v28 :: v_dual_sub_f32 v107, v34, v35
	v_dual_sub_f32 v33, v26, v33 :: v_dual_sub_f32 v28, v28, v26
	v_dual_sub_f32 v35, v35, v36 :: v_dual_add_f32 v40, v40, v50
	v_dual_add_f32 v41, v41, v51 :: v_dual_add_f32 v50, v83, v24
	v_add_f32_e32 v51, v84, v25
	v_dual_mul_f32 v24, 0x3f4a47b2, v37 :: v_dual_mul_f32 v25, 0x3f4a47b2, v38
	v_dual_mul_f32 v37, 0x3d64c772, v32 :: v_dual_mul_f32 v38, 0x3d64c772, v39
	v_sub_f32_e32 v42, v42, v46
	v_add_f32_e32 v46, v46, v91
	v_dual_sub_f32 v34, v36, v34 :: v_dual_mul_f32 v83, 0xbf08b237, v89
	v_mul_f32_e32 v84, 0xbf08b237, v90
	v_dual_mul_f32 v89, 0xbf5ff5aa, v27 :: v_dual_add_f32 v36, v96, v36
	v_dual_mul_f32 v90, 0xbf5ff5aa, v31 :: v_dual_add_f32 v47, v47, v92
	v_dual_add_f32 v91, v95, v26 :: v_dual_mul_f32 v92, 0x3d64c772, v44
	v_dual_mul_f32 v95, 0x3d64c772, v45 :: v_dual_fmamk_f32 v32, v32, 0x3d64c772, v24
	v_mul_f32_e32 v96, 0xbf08b237, v106
	v_fmamk_f32 v39, v39, 0x3d64c772, v25
	v_fma_f32 v37, 0x3f3bfb3b, v81, -v37
	v_fma_f32 v38, 0x3f3bfb3b, v82, -v38
	;; [unrolled: 1-line block ×3, first 2 shown]
	v_add_f32_e32 v24, v85, v40
	v_mul_f32_e32 v106, 0xbf08b237, v107
	v_dual_mul_f32 v107, 0xbf5ff5aa, v28 :: v_dual_mul_f32 v108, 0xbf5ff5aa, v35
	v_fma_f32 v82, 0xbf3bfb3b, v82, -v25
	v_dual_add_f32 v25, v86, v41 :: v_dual_mul_f32 v42, 0x3f4a47b2, v42
	v_mul_f32_e32 v43, 0x3f4a47b2, v43
	v_fma_f32 v86, 0x3f5ff5aa, v31, -v84
	v_add_f32_e32 v26, v87, v46
	v_fma_f32 v31, 0x3f3bfb3b, v93, -v92
	v_fma_f32 v92, 0x3f5ff5aa, v28, -v96
	v_dual_fmac_f32 v107, 0xbeae86e6, v33 :: v_dual_fmac_f32 v108, 0xbeae86e6, v34
	v_fmamk_f32 v28, v40, 0xbf955555, v24
	v_fmamk_f32 v87, v33, 0x3eae86e6, v96
	;; [unrolled: 1-line block ×3, first 2 shown]
	v_fma_f32 v85, 0x3f5ff5aa, v27, -v83
	v_add_f32_e32 v27, v88, v47
	v_dual_add_f32 v40, v32, v28 :: v_dual_fmamk_f32 v83, v29, 0x3eae86e6, v83
	v_fmamk_f32 v84, v30, 0x3eae86e6, v84
	v_dual_fmac_f32 v89, 0xbeae86e6, v29 :: v_dual_fmac_f32 v90, 0xbeae86e6, v30
	v_dual_fmamk_f32 v29, v44, 0x3d64c772, v42 :: v_dual_fmamk_f32 v30, v45, 0x3d64c772, v43
	v_fma_f32 v42, 0xbf3bfb3b, v93, -v42
	v_dual_add_f32 v39, v39, v33 :: v_dual_fmamk_f32 v88, v34, 0x3eae86e6, v106
	v_fma_f32 v93, 0x3f5ff5aa, v35, -v106
	v_dual_fmamk_f32 v34, v46, 0xbf955555, v26 :: v_dual_fmamk_f32 v35, v47, 0xbf955555, v27
	v_fma_f32 v44, 0x3f3bfb3b, v94, -v95
	v_fma_f32 v43, 0xbf3bfb3b, v94, -v43
	v_dual_fmac_f32 v83, 0x3ee1c552, v50 :: v_dual_fmac_f32 v84, 0x3ee1c552, v51
	v_dual_fmac_f32 v85, 0x3ee1c552, v50 :: v_dual_fmac_f32 v86, 0x3ee1c552, v51
	;; [unrolled: 1-line block ×6, first 2 shown]
	v_dual_add_f32 v36, v37, v28 :: v_dual_add_f32 v37, v38, v33
	v_dual_add_f32 v38, v81, v28 :: v_dual_add_f32 v41, v82, v33
	;; [unrolled: 1-line block ×5, first 2 shown]
	v_dual_add_f32 v28, v84, v40 :: v_dual_sub_f32 v29, v39, v83
	v_dual_add_f32 v30, v90, v38 :: v_dual_add_f32 v33, v85, v37
	v_dual_sub_f32 v31, v41, v89 :: v_dual_sub_f32 v32, v36, v86
	v_dual_sub_f32 v35, v37, v85 :: v_dual_add_f32 v34, v86, v36
	v_dual_add_f32 v37, v89, v41 :: v_dual_sub_f32 v36, v38, v90
	v_dual_add_f32 v39, v83, v39 :: v_dual_sub_f32 v38, v40, v84
	v_dual_sub_f32 v41, v82, v87 :: v_dual_add_f32 v40, v88, v81
	v_dual_sub_f32 v43, v51, v107 :: v_dual_add_f32 v42, v108, v50
	;; [unrolled: 1-line block ×3, first 2 shown]
	v_dual_add_f32 v46, v93, v46 :: v_dual_add_f32 v51, v107, v51
	v_sub_f32_e32 v47, v47, v92
	v_sub_f32_e32 v50, v50, v108
	v_dual_sub_f32 v81, v81, v88 :: v_dual_add_f32 v82, v87, v82
	ds_store_2addr_b64 v103, v[24:25], v[28:29] offset1:7
	ds_store_2addr_b64 v103, v[30:31], v[32:33] offset0:14 offset1:21
	ds_store_2addr_b64 v103, v[34:35], v[36:37] offset0:28 offset1:35
	ds_store_b64 v103, v[38:39] offset:336
	ds_store_2addr_b64 v102, v[26:27], v[40:41] offset1:7
	ds_store_2addr_b64 v102, v[42:43], v[44:45] offset0:14 offset1:21
	ds_store_2addr_b64 v102, v[46:47], v[50:51] offset0:28 offset1:35
	ds_store_b64 v102, v[81:82] offset:336
	global_wb scope:SCOPE_SE
	s_wait_dscnt 0x0
	s_barrier_signal -1
	s_barrier_wait -1
	global_inv scope:SCOPE_SE
	s_clause 0x2
	global_load_b128 v[32:35], v[48:49], off offset:336
	global_load_b128 v[28:31], v[48:49], off offset:352
	;; [unrolled: 1-line block ×3, first 2 shown]
	v_mul_i32_i24_e32 v50, 0xffffffd8, v101
	v_mul_hi_i32_i24_e32 v51, 0xffffffd8, v101
	ds_load_2addr_b64 v[44:47], v97 offset0:98 offset1:147
	ds_load_2addr_b64 v[40:43], v97 offset0:196 offset1:245
	;; [unrolled: 1-line block ×5, first 2 shown]
	v_add_co_u32 v93, vcc_lo, v48, v50
	s_wait_alu 0xfffd
	v_add_co_ci_u32_e32 v94, vcc_lo, v49, v51, vcc_lo
	ds_load_2addr_b64 v[48:51], v99 offset0:76 offset1:125
	ds_load_2addr_b64 v[89:92], v97 offset1:49
	global_wb scope:SCOPE_SE
	s_wait_loadcnt_dscnt 0x0
	s_barrier_signal -1
	s_barrier_wait -1
	global_inv scope:SCOPE_SE
	v_mul_f32_e32 v95, v45, v33
	v_dual_mul_f32 v96, v44, v33 :: v_dual_mul_f32 v113, v43, v35
	v_dual_mul_f32 v106, v41, v35 :: v_dual_mul_f32 v109, v47, v33
	;; [unrolled: 1-line block ×11, first 2 shown]
	v_dual_mul_f32 v126, v51, v27 :: v_dual_fmac_f32 v107, v41, v34
	v_fma_f32 v44, v44, v32, -v95
	v_fma_f32 v40, v40, v34, -v106
	;; [unrolled: 1-line block ×3, first 2 shown]
	v_dual_fmac_f32 v114, v43, v34 :: v_dual_fmac_f32 v111, v37, v28
	v_fma_f32 v42, v85, v24, -v116
	v_fma_f32 v43, v48, v26, -v120
	v_dual_fmac_f32 v96, v45, v32 :: v_dual_fmac_f32 v115, v82, v30
	v_fma_f32 v45, v46, v32, -v109
	v_dual_fmac_f32 v110, v47, v32 :: v_dual_fmac_f32 v123, v49, v26
	v_fma_f32 v36, v36, v28, -v108
	v_fma_f32 v37, v38, v28, -v117
	v_fmac_f32_e32 v118, v39, v28
	v_fma_f32 v38, v81, v30, -v112
	v_add_f32_e32 v49, v96, v123
	v_fma_f32 v39, v83, v30, -v121
	v_dual_fmac_f32 v122, v84, v30 :: v_dual_fmac_f32 v119, v86, v24
	v_fma_f32 v46, v87, v24, -v124
	v_dual_fmac_f32 v125, v88, v24 :: v_dual_add_f32 v82, v111, v115
	v_fma_f32 v47, v50, v26, -v126
	v_dual_fmac_f32 v127, v51, v26 :: v_dual_add_f32 v48, v44, v43
	v_dual_add_f32 v50, v40, v42 :: v_dual_add_f32 v51, v107, v119
	s_delay_alu instid0(VALU_DEP_2) | instskip(NEXT) | instid1(VALU_DEP_4)
	v_dual_add_f32 v81, v36, v38 :: v_dual_add_f32 v86, v110, v127
	v_dual_add_f32 v83, v45, v47 :: v_dual_add_f32 v88, v118, v122
	;; [unrolled: 1-line block ×3, first 2 shown]
	v_dual_add_f32 v85, v37, v39 :: v_dual_sub_f32 v40, v40, v42
	v_dual_sub_f32 v43, v44, v43 :: v_dual_sub_f32 v36, v38, v36
	v_dual_sub_f32 v44, v96, v123 :: v_dual_sub_f32 v41, v41, v46
	v_sub_f32_e32 v42, v107, v119
	v_dual_sub_f32 v38, v115, v111 :: v_dual_add_f32 v95, v50, v48
	v_dual_sub_f32 v37, v39, v37 :: v_dual_add_f32 v106, v84, v83
	v_dual_sub_f32 v45, v45, v47 :: v_dual_sub_f32 v46, v114, v125
	v_dual_sub_f32 v47, v110, v127 :: v_dual_add_f32 v96, v51, v49
	v_sub_f32_e32 v39, v122, v118
	v_dual_add_f32 v107, v87, v86 :: v_dual_sub_f32 v108, v50, v48
	v_sub_f32_e32 v48, v48, v81
	v_dual_sub_f32 v50, v81, v50 :: v_dual_sub_f32 v109, v51, v49
	v_dual_sub_f32 v111, v87, v86 :: v_dual_sub_f32 v86, v86, v88
	;; [unrolled: 1-line block ×3, first 2 shown]
	v_dual_add_f32 v112, v36, v40 :: v_dual_sub_f32 v115, v38, v42
	v_dual_sub_f32 v113, v36, v40 :: v_dual_add_f32 v36, v38, v42
	v_dual_sub_f32 v40, v40, v43 :: v_dual_sub_f32 v117, v37, v41
	v_dual_sub_f32 v42, v42, v44 :: v_dual_add_f32 v81, v81, v95
	v_sub_f32_e32 v49, v49, v82
	v_sub_f32_e32 v51, v82, v51
	v_dual_sub_f32 v110, v84, v83 :: v_dual_sub_f32 v83, v83, v85
	v_sub_f32_e32 v84, v85, v84
	v_sub_f32_e32 v116, v44, v38
	v_dual_add_f32 v38, v37, v41 :: v_dual_sub_f32 v119, v39, v46
	v_dual_sub_f32 v118, v45, v37 :: v_dual_add_f32 v43, v112, v43
	v_sub_f32_e32 v41, v41, v45
	v_add_f32_e32 v37, v39, v46
	v_dual_sub_f32 v120, v47, v39 :: v_dual_add_f32 v85, v85, v106
	v_add_f32_e32 v82, v82, v96
	v_dual_add_f32 v88, v88, v107 :: v_dual_add_f32 v45, v38, v45
	v_add_f32_e32 v44, v36, v44
	v_dual_mul_f32 v48, 0x3f4a47b2, v48 :: v_dual_mul_f32 v49, 0x3f4a47b2, v49
	v_dual_mul_f32 v106, 0xbf08b237, v113 :: v_dual_mul_f32 v119, 0xbf08b237, v119
	;; [unrolled: 1-line block ×4, first 2 shown]
	v_dual_mul_f32 v113, 0xbf5ff5aa, v42 :: v_dual_add_f32 v36, v89, v81
	v_dual_sub_f32 v46, v46, v47 :: v_dual_mul_f32 v95, 0x3d64c772, v50
	v_add_f32_e32 v47, v37, v47
	v_dual_mul_f32 v96, 0x3d64c772, v51 :: v_dual_mul_f32 v115, 0x3d64c772, v84
	v_dual_mul_f32 v121, 0x3d64c772, v87 :: v_dual_add_f32 v38, v91, v85
	v_add_f32_e32 v37, v90, v82
	v_dual_add_f32 v39, v92, v88 :: v_dual_fmamk_f32 v50, v50, 0x3d64c772, v48
	v_fma_f32 v48, 0xbf3bfb3b, v108, -v48
	v_fma_f32 v91, 0x3f5ff5aa, v40, -v106
	v_fmamk_f32 v92, v114, 0x3eae86e6, v106
	v_fma_f32 v106, 0x3f5ff5aa, v41, -v117
	v_fmamk_f32 v41, v81, 0xbf955555, v36
	v_fmac_f32_e32 v107, 0xbeae86e6, v114
	v_dual_mul_f32 v83, 0x3f4a47b2, v83 :: v_dual_mul_f32 v86, 0x3f4a47b2, v86
	s_delay_alu instid0(VALU_DEP_3)
	v_dual_mul_f32 v123, 0xbf5ff5aa, v46 :: v_dual_add_f32 v50, v50, v41
	v_fma_f32 v89, 0x3f3bfb3b, v108, -v95
	v_fmamk_f32 v51, v51, 0x3d64c772, v49
	v_fma_f32 v90, 0x3f3bfb3b, v109, -v96
	v_fma_f32 v49, 0xbf3bfb3b, v109, -v49
	;; [unrolled: 1-line block ×3, first 2 shown]
	v_fmamk_f32 v96, v116, 0x3eae86e6, v112
	v_dual_fmac_f32 v113, 0xbeae86e6, v116 :: v_dual_fmac_f32 v122, 0xbeae86e6, v118
	s_delay_alu instid0(VALU_DEP_3) | instskip(NEXT) | instid1(VALU_DEP_3)
	v_dual_fmac_f32 v92, 0x3ee1c552, v43 :: v_dual_fmac_f32 v95, 0x3ee1c552, v44
	v_dual_fmac_f32 v91, 0x3ee1c552, v43 :: v_dual_fmac_f32 v96, 0x3ee1c552, v44
	v_dual_add_f32 v48, v48, v41 :: v_dual_fmac_f32 v107, 0x3ee1c552, v43
	v_fmamk_f32 v43, v82, 0xbf955555, v37
	v_fma_f32 v42, 0x3f3bfb3b, v110, -v115
	v_fma_f32 v109, 0x3f5ff5aa, v46, -v119
	v_dual_fmac_f32 v113, 0x3ee1c552, v44 :: v_dual_fmac_f32 v106, 0x3ee1c552, v45
	v_fmamk_f32 v44, v85, 0xbf955555, v38
	v_fmamk_f32 v40, v84, 0x3d64c772, v83
	v_fma_f32 v83, 0xbf3bfb3b, v110, -v83
	v_dual_fmamk_f32 v84, v87, 0x3d64c772, v86 :: v_dual_add_f32 v49, v49, v43
	s_delay_alu instid0(VALU_DEP_4) | instskip(SKIP_3) | instid1(VALU_DEP_4)
	v_dual_fmamk_f32 v110, v120, 0x3eae86e6, v119 :: v_dual_add_f32 v85, v42, v44
	v_fmac_f32_e32 v123, 0xbeae86e6, v120
	v_fma_f32 v87, 0x3f3bfb3b, v111, -v121
	v_dual_fmac_f32 v122, 0x3ee1c552, v45 :: v_dual_fmac_f32 v109, 0x3ee1c552, v47
	v_fmac_f32_e32 v110, 0x3ee1c552, v47
	s_delay_alu instid0(VALU_DEP_4)
	v_fmac_f32_e32 v123, 0x3ee1c552, v47
	v_add_f32_e32 v47, v90, v43
	v_fmamk_f32 v108, v118, 0x3eae86e6, v117
	v_fma_f32 v86, 0xbf3bfb3b, v111, -v86
	v_add_f32_e32 v111, v40, v44
	v_add_f32_e32 v40, v96, v50
	v_sub_f32_e32 v50, v50, v96
	v_fmac_f32_e32 v108, 0x3ee1c552, v45
	v_fmamk_f32 v45, v88, 0xbf955555, v39
	s_delay_alu instid0(VALU_DEP_1) | instskip(SKIP_3) | instid1(VALU_DEP_4)
	v_add_f32_e32 v90, v86, v45
	v_dual_add_f32 v46, v89, v41 :: v_dual_add_f32 v51, v51, v43
	v_add_f32_e32 v89, v83, v44
	v_add_f32_e32 v43, v91, v47
	v_dual_sub_f32 v83, v85, v109 :: v_dual_sub_f32 v88, v90, v122
	s_delay_alu instid0(VALU_DEP_4)
	v_sub_f32_e32 v42, v46, v95
	v_add_f32_e32 v112, v84, v45
	v_add_f32_e32 v87, v87, v45
	v_sub_f32_e32 v41, v51, v92
	v_add_f32_e32 v44, v95, v46
	v_dual_sub_f32 v45, v47, v91 :: v_dual_add_f32 v46, v113, v48
	v_dual_sub_f32 v47, v49, v107 :: v_dual_sub_f32 v48, v48, v113
	v_dual_add_f32 v49, v107, v49 :: v_dual_sub_f32 v82, v112, v108
	v_dual_add_f32 v51, v92, v51 :: v_dual_sub_f32 v86, v87, v106
	v_dual_add_f32 v81, v110, v111 :: v_dual_add_f32 v92, v108, v112
	v_dual_add_f32 v84, v106, v87 :: v_dual_add_f32 v85, v109, v85
	;; [unrolled: 1-line block ×3, first 2 shown]
	v_sub_f32_e32 v89, v89, v123
	v_sub_f32_e32 v91, v111, v110
	ds_store_2addr_b64 v97, v[36:37], v[40:41] offset1:49
	ds_store_2addr_b64 v97, v[46:47], v[42:43] offset0:98 offset1:147
	ds_store_2addr_b64 v97, v[44:45], v[48:49] offset0:196 offset1:245
	;; [unrolled: 1-line block ×6, first 2 shown]
	global_wb scope:SCOPE_SE
	s_wait_dscnt 0x0
	s_barrier_signal -1
	s_barrier_wait -1
	global_inv scope:SCOPE_SE
	s_clause 0x6
	global_load_b64 v[81:82], v[93:94], off offset:3080
	global_load_b64 v[83:84], v[93:94], off offset:3472
	;; [unrolled: 1-line block ×7, first 2 shown]
	ds_load_2addr_b64 v[36:39], v98 offset0:136 offset1:185
	ds_load_2addr_b64 v[40:43], v100 offset0:106 offset1:155
	;; [unrolled: 1-line block ×4, first 2 shown]
	ds_load_2addr_b64 v[106:109], v97 offset1:49
	ds_load_2addr_b64 v[110:113], v97 offset0:98 offset1:147
	ds_load_2addr_b64 v[114:117], v97 offset0:196 offset1:245
	s_wait_loadcnt_dscnt 0x606
	v_mul_f32_e32 v95, v37, v82
	v_mul_f32_e32 v96, v36, v82
	s_wait_loadcnt 0x5
	v_mul_f32_e32 v118, v39, v84
	s_wait_loadcnt_dscnt 0x305
	v_mul_f32_e32 v122, v43, v88
	s_wait_loadcnt_dscnt 0x204
	v_dual_mul_f32 v123, v42, v88 :: v_dual_mul_f32 v124, v45, v90
	s_wait_loadcnt_dscnt 0x3
	v_dual_mul_f32 v127, v46, v92 :: v_dual_mul_f32 v128, v51, v94
	v_fma_f32 v95, v36, v81, -v95
	v_mul_f32_e32 v129, v50, v94
	v_dual_mul_f32 v119, v38, v84 :: v_dual_mul_f32 v120, v41, v86
	v_dual_mul_f32 v121, v40, v86 :: v_dual_mul_f32 v126, v47, v92
	v_fma_f32 v36, v50, v93, -v128
	v_dual_mul_f32 v125, v44, v90 :: v_dual_fmac_f32 v96, v37, v81
	v_fma_f32 v118, v38, v83, -v118
	v_fma_f32 v124, v44, v89, -v124
	s_wait_dscnt 0x2
	v_sub_f32_e32 v36, v106, v36
	v_dual_sub_f32 v38, v108, v95 :: v_dual_fmac_f32 v129, v51, v93
	v_fmac_f32_e32 v119, v39, v83
	v_fma_f32 v120, v40, v85, -v120
	s_wait_dscnt 0x1
	v_dual_sub_f32 v40, v110, v118 :: v_dual_fmac_f32 v121, v41, v85
	v_fma_f32 v122, v42, v87, -v122
	v_fmac_f32_e32 v123, v43, v87
	v_fma_f32 v50, v46, v91, -v126
	v_fmac_f32_e32 v125, v45, v89
	v_fmac_f32_e32 v127, v47, v91
	v_sub_f32_e32 v39, v109, v96
	s_wait_dscnt 0x0
	v_dual_sub_f32 v46, v116, v124 :: v_dual_sub_f32 v37, v107, v129
	v_dual_sub_f32 v41, v111, v119 :: v_dual_sub_f32 v42, v112, v120
	;; [unrolled: 1-line block ×4, first 2 shown]
	v_sub_f32_e32 v47, v117, v125
	v_sub_f32_e32 v51, v49, v127
	v_fma_f32 v95, v106, 2.0, -v36
	v_fma_f32 v96, v107, 2.0, -v37
	;; [unrolled: 1-line block ×14, first 2 shown]
	ds_store_b64 v97, v[36:37] offset:2744
	ds_store_2addr_b64 v97, v[95:96], v[106:107] offset1:49
	ds_store_2addr_b64 v98, v[38:39], v[40:41] offset0:136 offset1:185
	ds_store_2addr_b64 v97, v[108:109], v[110:111] offset0:98 offset1:147
	;; [unrolled: 1-line block ×4, first 2 shown]
	ds_store_b64 v97, v[48:49] offset:2352
	ds_store_2addr_b64 v99, v[46:47], v[50:51] offset0:76 offset1:125
	global_wb scope:SCOPE_SE
	s_wait_dscnt 0x0
	s_barrier_signal -1
	s_barrier_wait -1
	global_inv scope:SCOPE_SE
	s_clause 0xd
	global_load_b64 v[40:41], v97, s[8:9] offset:5488
	global_load_b64 v[95:96], v97, s[2:3] offset:392
	global_load_b64 v[106:107], v97, s[2:3] offset:784
	global_load_b64 v[108:109], v97, s[2:3] offset:1176
	global_load_b64 v[110:111], v97, s[2:3] offset:1568
	global_load_b64 v[112:113], v97, s[2:3] offset:1960
	global_load_b64 v[114:115], v97, s[2:3] offset:2352
	global_load_b64 v[116:117], v97, s[2:3] offset:2744
	global_load_b64 v[118:119], v97, s[2:3] offset:3136
	global_load_b64 v[120:121], v97, s[2:3] offset:3528
	global_load_b64 v[122:123], v97, s[2:3] offset:3920
	global_load_b64 v[124:125], v97, s[2:3] offset:4312
	global_load_b64 v[126:127], v97, s[2:3] offset:4704
	global_load_b64 v[128:129], v97, s[2:3] offset:5096
	ds_load_2addr_b64 v[36:39], v97 offset1:49
	s_mov_b32 s2, 0x515a4f1d
	s_mov_b32 s3, 0x3f57e225
	s_wait_loadcnt_dscnt 0xd00
	v_mul_f32_e32 v43, v37, v41
	v_mul_f32_e32 v42, v36, v41
	s_delay_alu instid0(VALU_DEP_2) | instskip(NEXT) | instid1(VALU_DEP_2)
	v_fma_f32 v41, v36, v40, -v43
	v_fmac_f32_e32 v42, v37, v40
	s_wait_loadcnt 0xc
	v_mul_f32_e32 v36, v39, v96
	ds_store_b64 v97, v[41:42]
	ds_load_2addr_b64 v[40:43], v97 offset0:98 offset1:147
	ds_load_2addr_b64 v[44:47], v97 offset0:196 offset1:245
	;; [unrolled: 1-line block ×3, first 2 shown]
	v_mul_f32_e32 v131, v38, v96
	v_fma_f32 v130, v38, v95, -v36
	s_delay_alu instid0(VALU_DEP_2)
	v_fmac_f32_e32 v131, v39, v95
	ds_load_2addr_b64 v[36:39], v98 offset0:136 offset1:185
	s_wait_loadcnt_dscnt 0xb03
	v_mul_f32_e32 v95, v41, v107
	s_wait_loadcnt 0xa
	v_dual_mul_f32 v96, v40, v107 :: v_dual_mul_f32 v107, v43, v109
	v_mul_f32_e32 v133, v42, v109
	s_wait_loadcnt_dscnt 0x902
	v_mul_f32_e32 v109, v45, v111
	v_mul_f32_e32 v135, v44, v111
	s_wait_loadcnt 0x8
	v_mul_f32_e32 v137, v47, v113
	v_dual_mul_f32 v111, v46, v113 :: v_dual_fmac_f32 v96, v41, v106
	v_fmac_f32_e32 v133, v43, v108
	v_fma_f32 v134, v44, v110, -v109
	v_fmac_f32_e32 v135, v45, v110
	v_fma_f32 v110, v46, v112, -v137
	v_fmac_f32_e32 v111, v47, v112
	s_wait_loadcnt_dscnt 0x601
	v_mul_f32_e32 v46, v51, v117
	v_fma_f32 v95, v40, v106, -v95
	s_wait_loadcnt_dscnt 0x500
	v_mul_f32_e32 v112, v37, v119
	v_fma_f32 v132, v42, v108, -v107
	ds_load_2addr_b64 v[40:43], v100 offset0:106 offset1:155
	ds_load_2addr_b64 v[106:109], v99 offset0:76 offset1:125
	v_mul_f32_e32 v44, v49, v115
	v_mul_f32_e32 v45, v48, v115
	;; [unrolled: 1-line block ×4, first 2 shown]
	v_fma_f32 v46, v50, v116, -v46
	v_fma_f32 v44, v48, v114, -v44
	s_wait_loadcnt 0x4
	v_dual_fmac_f32 v45, v49, v114 :: v_dual_mul_f32 v48, v39, v121
	v_mul_f32_e32 v49, v38, v121
	v_fmac_f32_e32 v47, v51, v116
	v_fma_f32 v112, v36, v118, -v112
	v_fmac_f32_e32 v113, v37, v118
	v_fma_f32 v48, v38, v120, -v48
	s_wait_loadcnt_dscnt 0x301
	v_dual_fmac_f32 v49, v39, v120 :: v_dual_mul_f32 v50, v41, v123
	v_mul_f32_e32 v51, v40, v123
	s_wait_loadcnt_dscnt 0x100
	v_mul_f32_e32 v36, v107, v127
	s_wait_loadcnt 0x0
	v_dual_mul_f32 v37, v106, v127 :: v_dual_mul_f32 v38, v109, v129
	v_mul_f32_e32 v39, v108, v129
	v_mul_f32_e32 v114, v43, v125
	;; [unrolled: 1-line block ×3, first 2 shown]
	v_fma_f32 v50, v40, v122, -v50
	v_fmac_f32_e32 v51, v41, v122
	v_fma_f32 v36, v106, v126, -v36
	v_fmac_f32_e32 v37, v107, v126
	;; [unrolled: 2-line block ×4, first 2 shown]
	ds_store_2addr_b64 v97, v[130:131], v[95:96] offset0:49 offset1:98
	ds_store_2addr_b64 v97, v[132:133], v[134:135] offset0:147 offset1:196
	;; [unrolled: 1-line block ×6, first 2 shown]
	ds_store_b64 v97, v[38:39] offset:5096
	global_wb scope:SCOPE_SE
	s_wait_dscnt 0x0
	s_barrier_signal -1
	s_barrier_wait -1
	global_inv scope:SCOPE_SE
	ds_load_2addr_b64 v[36:39], v97 offset0:98 offset1:147
	ds_load_2addr_b64 v[44:47], v99 offset0:76 offset1:125
	;; [unrolled: 1-line block ×6, first 2 shown]
	ds_load_2addr_b64 v[114:117], v97 offset1:49
	v_mad_co_u64_u32 v[95:96], null, s6, v80, 0
	global_wb scope:SCOPE_SE
	s_wait_dscnt 0x0
	s_barrier_signal -1
	s_barrier_wait -1
	global_inv scope:SCOPE_SE
	v_add_f32_e32 v118, v36, v44
	v_sub_f32_e32 v36, v36, v44
	v_add_f32_e32 v44, v38, v46
	v_sub_f32_e32 v38, v38, v46
	;; [unrolled: 2-line block ×5, first 2 shown]
	v_dual_add_f32 v110, v108, v112 :: v_dual_add_f32 v119, v37, v45
	v_sub_f32_e32 v37, v37, v45
	v_dual_add_f32 v45, v39, v47 :: v_dual_sub_f32 v108, v112, v108
	v_dual_sub_f32 v39, v39, v47 :: v_dual_add_f32 v112, v46, v118
	v_dual_add_f32 v47, v41, v49 :: v_dual_add_f32 v120, v48, v44
	v_dual_sub_f32 v41, v41, v49 :: v_dual_sub_f32 v122, v118, v50
	v_sub_f32_e32 v123, v50, v46
	v_dual_add_f32 v126, v106, v40 :: v_dual_add_f32 v49, v43, v51
	v_sub_f32_e32 v46, v46, v118
	v_sub_f32_e32 v118, v48, v44
	v_dual_sub_f32 v48, v110, v48 :: v_dual_sub_f32 v43, v43, v51
	v_add_f32_e32 v51, v107, v111
	v_sub_f32_e32 v107, v111, v107
	v_dual_add_f32 v111, v109, v113 :: v_dual_add_f32 v130, v108, v42
	s_delay_alu instid0(VALU_DEP_3) | instskip(SKIP_4) | instid1(VALU_DEP_4)
	v_dual_sub_f32 v131, v108, v42 :: v_dual_sub_f32 v124, v119, v51
	v_sub_f32_e32 v44, v44, v110
	v_sub_f32_e32 v108, v38, v108
	v_add_f32_e32 v50, v50, v112
	v_dual_add_f32 v110, v110, v120 :: v_dual_sub_f32 v129, v107, v41
	v_mul_f32_e32 v44, 0x3f4a47b2, v44
	v_dual_add_f32 v112, v126, v36 :: v_dual_add_f32 v121, v49, v45
	v_dual_sub_f32 v109, v113, v109 :: v_dual_add_f32 v130, v130, v38
	v_add_f32_e32 v113, v47, v119
	v_dual_sub_f32 v125, v51, v47 :: v_dual_mul_f32 v134, 0x3d64c772, v48
	v_sub_f32_e32 v47, v47, v119
	v_dual_sub_f32 v119, v49, v45 :: v_dual_sub_f32 v42, v42, v38
	v_dual_sub_f32 v127, v106, v40 :: v_dual_sub_f32 v106, v36, v106
	v_dual_mul_f32 v126, 0x3d64c772, v123 :: v_dual_sub_f32 v49, v111, v49
	v_sub_f32_e32 v45, v45, v111
	v_add_f32_e32 v111, v111, v121
	v_dual_mul_f32 v121, 0x3f4a47b2, v122 :: v_dual_mul_f32 v122, 0x3f4a47b2, v124
	v_mul_f32_e32 v124, 0x3f08b237, v129
	v_add_f32_e32 v128, v107, v41
	v_sub_f32_e32 v41, v41, v37
	v_dual_sub_f32 v107, v37, v107 :: v_dual_sub_f32 v40, v40, v36
	v_add_f32_e32 v36, v114, v50
	s_delay_alu instid0(VALU_DEP_4) | instskip(NEXT) | instid1(VALU_DEP_4)
	v_add_f32_e32 v120, v128, v37
	v_mul_f32_e32 v128, 0x3f5ff5aa, v41
	v_mul_f32_e32 v136, 0x3f5ff5aa, v42
	v_add_f32_e32 v132, v109, v43
	v_dual_add_f32 v38, v116, v110 :: v_dual_add_f32 v51, v51, v113
	s_delay_alu instid0(VALU_DEP_4) | instskip(NEXT) | instid1(VALU_DEP_4)
	v_fmac_f32_e32 v128, 0x3eae86e6, v107
	v_fmac_f32_e32 v136, 0x3eae86e6, v108
	s_delay_alu instid0(VALU_DEP_4)
	v_add_f32_e32 v132, v132, v39
	v_fmamk_f32 v116, v123, 0x3d64c772, v121
	v_fma_f32 v123, 0x3f3bfb3b, v46, -v126
	v_fmac_f32_e32 v128, 0xbee1c552, v120
	v_mul_f32_e32 v131, 0x3f08b237, v131
	v_sub_f32_e32 v133, v109, v43
	v_sub_f32_e32 v43, v43, v39
	;; [unrolled: 1-line block ×3, first 2 shown]
	v_add_f32_e32 v39, v117, v111
	v_fma_f32 v46, 0xbf3bfb3b, v46, -v121
	v_fma_f32 v121, 0xbf5ff5aa, v42, -v131
	;; [unrolled: 1-line block ×3, first 2 shown]
	v_fmamk_f32 v44, v48, 0x3d64c772, v44
	v_fmamk_f32 v48, v50, 0xbf955555, v36
	v_fmamk_f32 v50, v110, 0xbf955555, v38
	v_mul_f32_e32 v113, 0x3f08b237, v127
	v_mul_f32_e32 v127, 0x3f5ff5aa, v40
	;; [unrolled: 1-line block ×4, first 2 shown]
	v_fmac_f32_e32 v136, 0xbee1c552, v130
	v_fmamk_f32 v114, v106, 0xbeae86e6, v113
	v_fmac_f32_e32 v127, 0x3eae86e6, v106
	v_fma_f32 v106, 0xbf5ff5aa, v41, -v124
	v_fma_f32 v113, 0xbf5ff5aa, v40, -v113
	v_fma_f32 v40, 0x3f3bfb3b, v47, -v129
	v_fma_f32 v41, 0xbf3bfb3b, v47, -v122
	v_fma_f32 v47, 0x3f3bfb3b, v118, -v134
	v_fmamk_f32 v118, v108, 0xbeae86e6, v131
	v_dual_fmac_f32 v106, 0xbee1c552, v120 :: v_dual_add_f32 v37, v115, v51
	v_fmamk_f32 v115, v107, 0xbeae86e6, v124
	v_fma_f32 v107, 0x3f3bfb3b, v119, -v135
	v_mul_f32_e32 v133, 0x3f08b237, v133
	v_fmac_f32_e32 v114, 0xbee1c552, v112
	v_add_f32_e32 v108, v116, v48
	v_fmac_f32_e32 v115, 0xbee1c552, v120
	v_dual_mul_f32 v45, 0x3f4a47b2, v45 :: v_dual_add_f32 v110, v123, v48
	v_fmamk_f32 v117, v125, 0x3d64c772, v122
	v_fma_f32 v122, 0xbf5ff5aa, v43, -v133
	v_mul_f32_e32 v137, 0x3f5ff5aa, v43
	s_delay_alu instid0(VALU_DEP_4)
	v_fma_f32 v43, 0xbf3bfb3b, v119, -v45
	v_add_f32_e32 v48, v46, v48
	v_dual_fmac_f32 v113, 0xbee1c552, v112 :: v_dual_fmac_f32 v118, 0xbee1c552, v130
	v_fmac_f32_e32 v122, 0xbee1c552, v132
	v_fmamk_f32 v45, v49, 0x3d64c772, v45
	v_fmamk_f32 v49, v51, 0xbf955555, v37
	;; [unrolled: 1-line block ×3, first 2 shown]
	v_add_f32_e32 v123, v44, v50
	v_dual_sub_f32 v44, v110, v106 :: v_dual_fmac_f32 v137, 0x3eae86e6, v109
	v_add_f32_e32 v46, v106, v110
	s_delay_alu instid0(VALU_DEP_4)
	v_dual_add_f32 v116, v107, v51 :: v_dual_fmamk_f32 v119, v109, 0xbeae86e6, v133
	v_add_f32_e32 v109, v117, v49
	v_dual_add_f32 v117, v42, v50 :: v_dual_add_f32 v42, v128, v48
	v_sub_f32_e32 v48, v48, v128
	v_dual_fmac_f32 v127, 0xbee1c552, v112 :: v_dual_add_f32 v112, v47, v50
	v_sub_f32_e32 v50, v108, v115
	v_add_f32_e32 v120, v43, v51
	s_delay_alu instid0(VALU_DEP_3) | instskip(SKIP_1) | instid1(VALU_DEP_1)
	v_dual_sub_f32 v106, v112, v122 :: v_dual_fmac_f32 v119, 0xbee1c552, v132
	v_fmac_f32_e32 v137, 0xbee1c552, v132
	v_dual_fmac_f32 v121, 0xbee1c552, v130 :: v_dual_add_f32 v110, v137, v117
	v_add_f32_e32 v111, v41, v49
	v_add_f32_e32 v49, v40, v49
	;; [unrolled: 1-line block ×5, first 2 shown]
	v_sub_f32_e32 v41, v109, v114
	v_add_f32_e32 v45, v113, v49
	v_dual_add_f32 v51, v114, v109 :: v_dual_add_f32 v114, v123, v119
	v_add_f32_e32 v107, v121, v116
	v_dual_sub_f32 v109, v116, v121 :: v_dual_sub_f32 v116, v123, v119
	v_dual_sub_f32 v112, v117, v137 :: v_dual_sub_f32 v43, v111, v127
	v_sub_f32_e32 v47, v49, v113
	v_add_f32_e32 v49, v127, v111
	v_sub_f32_e32 v115, v124, v118
	v_sub_f32_e32 v111, v120, v136
	v_add_f32_e32 v113, v136, v120
	v_add_f32_e32 v117, v118, v124
	ds_store_2addr_b64 v105, v[36:37], v[40:41] offset1:1
	ds_store_2addr_b64 v105, v[42:43], v[44:45] offset0:2 offset1:3
	ds_store_2addr_b64 v105, v[46:47], v[48:49] offset0:4 offset1:5
	ds_store_b64 v105, v[50:51] offset:48
	ds_store_2addr_b64 v104, v[38:39], v[114:115] offset1:1
	ds_store_2addr_b64 v104, v[110:111], v[106:107] offset0:2 offset1:3
	ds_store_2addr_b64 v104, v[108:109], v[112:113] offset0:4 offset1:5
	ds_store_b64 v104, v[116:117] offset:48
	global_wb scope:SCOPE_SE
	s_wait_dscnt 0x0
	s_barrier_signal -1
	s_barrier_wait -1
	global_inv scope:SCOPE_SE
	ds_load_2addr_b64 v[38:41], v97 offset0:98 offset1:147
	ds_load_2addr_b64 v[42:45], v97 offset0:196 offset1:245
	;; [unrolled: 1-line block ×6, first 2 shown]
	ds_load_2addr_b64 v[116:119], v97 offset1:49
	v_mov_b32_e32 v50, v96
	global_wb scope:SCOPE_SE
	s_wait_dscnt 0x0
	s_barrier_signal -1
	s_barrier_wait -1
	global_inv scope:SCOPE_SE
	v_mad_co_u64_u32 v[50:51], null, s7, v80, v[50:51]
	v_mad_co_u64_u32 v[36:37], null, s4, v101, 0
	v_mul_f32_e32 v96, v17, v41
	v_dual_mul_f32 v120, v19, v45 :: v_dual_mul_f32 v121, v9, v47
	v_mul_f32_e32 v122, v11, v105
	s_delay_alu instid0(VALU_DEP_3) | instskip(NEXT) | instid1(VALU_DEP_3)
	v_dual_mul_f32 v125, v1, v109 :: v_dual_fmac_f32 v96, v16, v40
	v_fmac_f32_e32 v120, v18, v44
	v_mul_f32_e32 v17, v17, v40
	v_mul_f32_e32 v19, v19, v44
	v_dual_fmac_f32 v121, v8, v46 :: v_dual_fmac_f32 v122, v10, v104
	v_mul_f32_e32 v51, v21, v39
	s_delay_alu instid0(VALU_DEP_4) | instskip(NEXT) | instid1(VALU_DEP_4)
	v_fma_f32 v16, v16, v41, -v17
	v_fma_f32 v17, v18, v45, -v19
	s_delay_alu instid0(VALU_DEP_4) | instskip(SKIP_4) | instid1(VALU_DEP_4)
	v_dual_mul_f32 v21, v21, v38 :: v_dual_sub_f32 v18, v122, v121
	v_dual_mul_f32 v1, v1, v108 :: v_dual_mul_f32 v80, v23, v43
	v_mul_f32_e32 v126, v3, v113
	v_mul_f32_e32 v3, v3, v112
	v_fmac_f32_e32 v125, v0, v108
	v_fma_f32 v0, v0, v109, -v1
	v_mul_f32_e32 v23, v23, v42
	v_fmac_f32_e32 v51, v20, v38
	v_fma_f32 v20, v20, v39, -v21
	v_fmac_f32_e32 v80, v22, v42
	v_fma_f32 v1, v2, v113, -v3
	v_fma_f32 v21, v22, v43, -v23
	v_mul_f32_e32 v22, v5, v111
	v_dual_mul_f32 v5, v5, v110 :: v_dual_fmac_f32 v126, v2, v112
	v_mul_f32_e32 v124, v15, v107
	s_delay_alu instid0(VALU_DEP_3) | instskip(NEXT) | instid1(VALU_DEP_3)
	v_fmac_f32_e32 v22, v4, v110
	v_fma_f32 v2, v4, v111, -v5
	v_add_f32_e32 v5, v20, v1
	v_sub_f32_e32 v1, v20, v1
	v_mul_f32_e32 v23, v7, v115
	v_mul_f32_e32 v7, v7, v114
	v_add_f32_e32 v4, v51, v126
	v_dual_mul_f32 v11, v11, v104 :: v_dual_fmac_f32 v124, v14, v106
	s_delay_alu instid0(VALU_DEP_3) | instskip(NEXT) | instid1(VALU_DEP_1)
	v_fma_f32 v3, v6, v115, -v7
	v_add_f32_e32 v19, v16, v3
	v_sub_f32_e32 v3, v16, v3
	v_add_f32_e32 v16, v120, v22
	v_sub_f32_e32 v22, v120, v22
	v_add_f32_e32 v7, v80, v125
	s_delay_alu instid0(VALU_DEP_1) | instskip(NEXT) | instid1(VALU_DEP_1)
	v_dual_mul_f32 v123, v13, v49 :: v_dual_sub_f32 v40, v7, v4
	v_fmac_f32_e32 v123, v12, v48
	s_delay_alu instid0(VALU_DEP_1) | instskip(NEXT) | instid1(VALU_DEP_1)
	v_dual_mul_f32 v9, v9, v46 :: v_dual_sub_f32 v38, v124, v123
	v_fma_f32 v8, v8, v47, -v9
	v_fma_f32 v9, v10, v105, -v11
	v_mul_f32_e32 v15, v15, v106
	s_delay_alu instid0(VALU_DEP_1) | instskip(SKIP_3) | instid1(VALU_DEP_2)
	v_fma_f32 v11, v14, v107, -v15
	v_add_f32_e32 v14, v121, v122
	v_mul_f32_e32 v13, v13, v48
	v_dual_add_f32 v15, v8, v9 :: v_dual_sub_f32 v8, v9, v8
	v_fma_f32 v10, v12, v49, -v13
	v_add_f32_e32 v12, v21, v0
	v_sub_f32_e32 v0, v21, v0
	s_delay_alu instid0(VALU_DEP_1) | instskip(SKIP_2) | instid1(VALU_DEP_1)
	v_add_f32_e32 v43, v8, v0
	v_sub_f32_e32 v45, v8, v0
	v_dual_sub_f32 v8, v1, v8 :: v_dual_fmac_f32 v23, v6, v114
	v_add_f32_e32 v9, v96, v23
	s_delay_alu instid0(VALU_DEP_1) | instskip(SKIP_4) | instid1(VALU_DEP_2)
	v_sub_f32_e32 v48, v16, v9
	v_dual_sub_f32 v20, v96, v23 :: v_dual_add_f32 v21, v17, v2
	v_dual_sub_f32 v2, v17, v2 :: v_dual_add_f32 v23, v10, v11
	v_sub_f32_e32 v10, v11, v10
	v_sub_f32_e32 v96, v38, v22
	v_dual_sub_f32 v104, v10, v2 :: v_dual_add_f32 v39, v12, v5
	s_delay_alu instid0(VALU_DEP_2) | instskip(NEXT) | instid1(VALU_DEP_2)
	v_dual_mul_f32 v96, 0x3f08b237, v96 :: v_dual_sub_f32 v13, v80, v125
	v_dual_sub_f32 v41, v12, v5 :: v_dual_mul_f32 v104, 0x3f08b237, v104
	v_dual_add_f32 v80, v10, v2 :: v_dual_add_f32 v17, v123, v124
	s_delay_alu instid0(VALU_DEP_3)
	v_sub_f32_e32 v44, v18, v13
	v_sub_f32_e32 v6, v51, v126
	v_add_f32_e32 v51, v38, v22
	v_sub_f32_e32 v22, v22, v20
	v_dual_add_f32 v11, v7, v4 :: v_dual_sub_f32 v4, v4, v14
	v_dual_sub_f32 v7, v14, v7 :: v_dual_sub_f32 v38, v20, v38
	s_delay_alu instid0(VALU_DEP_2)
	v_dual_sub_f32 v10, v3, v10 :: v_dual_add_f32 v11, v14, v11
	v_add_f32_e32 v14, v15, v39
	v_add_f32_e32 v42, v18, v13
	v_sub_f32_e32 v18, v6, v18
	v_dual_sub_f32 v13, v13, v6 :: v_dual_sub_f32 v46, v0, v1
	v_mul_f32_e32 v4, 0x3f4a47b2, v4
	s_delay_alu instid0(VALU_DEP_4) | instskip(SKIP_3) | instid1(VALU_DEP_3)
	v_add_f32_e32 v6, v42, v6
	v_sub_f32_e32 v12, v15, v12
	v_add_f32_e32 v0, v16, v9
	v_dual_sub_f32 v9, v9, v17 :: v_dual_add_f32 v20, v51, v20
	v_dual_sub_f32 v5, v5, v15 :: v_dual_mul_f32 v42, 0x3d64c772, v12
	v_add_f32_e32 v47, v21, v19
	v_sub_f32_e32 v16, v17, v16
	v_add_f32_e32 v15, v17, v0
	v_mul_f32_e32 v9, 0x3f4a47b2, v9
	v_sub_f32_e32 v49, v21, v19
	v_sub_f32_e32 v19, v19, v23
	;; [unrolled: 1-line block ×3, first 2 shown]
	v_add_f32_e32 v17, v23, v47
	v_add_f32_e32 v23, v43, v1
	v_dual_mul_f32 v43, 0x3f08b237, v44 :: v_dual_mul_f32 v44, 0x3f08b237, v45
	v_sub_f32_e32 v105, v2, v3
	v_dual_add_f32 v0, v116, v11 :: v_dual_mul_f32 v47, 0x3f5ff5aa, v46
	v_dual_add_f32 v51, v80, v3 :: v_dual_mul_f32 v80, 0x3d64c772, v16
	s_delay_alu instid0(VALU_DEP_3) | instskip(SKIP_1) | instid1(VALU_DEP_2)
	v_mul_f32_e32 v108, 0x3f5ff5aa, v105
	v_mul_f32_e32 v5, 0x3f4a47b2, v5
	v_dual_fmac_f32 v47, 0x3eae86e6, v8 :: v_dual_fmac_f32 v108, 0x3eae86e6, v10
	s_delay_alu instid0(VALU_DEP_2)
	v_dual_fmamk_f32 v12, v12, 0x3d64c772, v5 :: v_dual_mul_f32 v39, 0x3d64c772, v7
	v_fma_f32 v5, 0xbf3bfb3b, v41, -v5
	v_mul_f32_e32 v45, 0x3f5ff5aa, v13
	v_fmamk_f32 v7, v7, 0x3d64c772, v4
	v_fma_f32 v4, 0xbf3bfb3b, v40, -v4
	v_fma_f32 v39, 0x3f3bfb3b, v40, -v39
	v_fma_f32 v40, 0x3f3bfb3b, v41, -v42
	v_fmamk_f32 v41, v18, 0xbeae86e6, v43
	v_fmac_f32_e32 v45, 0x3eae86e6, v18
	v_fma_f32 v18, 0xbf5ff5aa, v46, -v44
	v_dual_add_f32 v1, v117, v14 :: v_dual_fmamk_f32 v42, v8, 0xbeae86e6, v44
	v_fmamk_f32 v44, v38, 0xbeae86e6, v96
	v_fmamk_f32 v46, v10, 0xbeae86e6, v104
	s_delay_alu instid0(VALU_DEP_3) | instskip(SKIP_1) | instid1(VALU_DEP_4)
	v_dual_fmamk_f32 v10, v11, 0xbf955555, v0 :: v_dual_fmamk_f32 v11, v14, 0xbf955555, v1
	v_fmamk_f32 v8, v16, 0x3d64c772, v9
	v_dual_fmac_f32 v44, 0xbee1c552, v20 :: v_dual_add_f32 v3, v119, v17
	v_mul_f32_e32 v106, 0x3d64c772, v21
	s_delay_alu instid0(VALU_DEP_2) | instskip(SKIP_1) | instid1(VALU_DEP_1)
	v_dual_fmamk_f32 v14, v17, 0xbf955555, v3 :: v_dual_add_f32 v17, v12, v11
	v_dual_add_f32 v12, v39, v10 :: v_dual_mul_f32 v19, 0x3f4a47b2, v19
	v_fmamk_f32 v16, v21, 0x3d64c772, v19
	v_fma_f32 v19, 0xbf3bfb3b, v49, -v19
	v_fma_f32 v21, 0x3f3bfb3b, v48, -v80
	s_delay_alu instid0(VALU_DEP_2) | instskip(SKIP_3) | instid1(VALU_DEP_2)
	v_add_f32_e32 v80, v19, v14
	v_fma_f32 v9, 0xbf3bfb3b, v48, -v9
	v_fma_f32 v48, 0xbf5ff5aa, v22, -v96
	v_mov_b32_e32 v96, v50
	v_fmac_f32_e32 v48, 0xbee1c552, v20
	v_fmac_f32_e32 v46, 0xbee1c552, v51
	;; [unrolled: 1-line block ×5, first 2 shown]
	v_add_f32_e32 v23, v4, v10
	v_mul_f32_e32 v107, 0x3f5ff5aa, v22
	v_dual_fmac_f32 v41, 0xbee1c552, v6 :: v_dual_fmac_f32 v108, 0xbee1c552, v51
	v_dual_add_f32 v2, v118, v15 :: v_dual_fmac_f32 v45, 0xbee1c552, v6
	s_delay_alu instid0(VALU_DEP_3) | instskip(NEXT) | instid1(VALU_DEP_3)
	v_dual_fmac_f32 v107, 0x3eae86e6, v38 :: v_dual_add_f32 v38, v5, v11
	v_sub_f32_e32 v5, v17, v41
	s_delay_alu instid0(VALU_DEP_2) | instskip(SKIP_3) | instid1(VALU_DEP_4)
	v_dual_fmac_f32 v107, 0xbee1c552, v20 :: v_dual_add_f32 v20, v40, v11
	v_fma_f32 v13, 0xbf5ff5aa, v13, -v43
	v_fma_f32 v43, 0x3f3bfb3b, v49, -v106
	v_add_f32_e32 v49, v16, v14
	v_sub_f32_e32 v19, v80, v107
	s_delay_alu instid0(VALU_DEP_4) | instskip(SKIP_4) | instid1(VALU_DEP_4)
	v_fmac_f32_e32 v13, 0xbee1c552, v6
	v_fmamk_f32 v6, v15, 0xbf955555, v2
	v_fma_f32 v22, 0xbf5ff5aa, v105, -v104
	v_add_f32_e32 v15, v7, v10
	v_add_f32_e32 v43, v43, v14
	v_dual_sub_f32 v7, v38, v45 :: v_dual_add_f32 v40, v8, v6
	s_delay_alu instid0(VALU_DEP_4) | instskip(NEXT) | instid1(VALU_DEP_4)
	v_dual_fmac_f32 v22, 0xbee1c552, v51 :: v_dual_add_f32 v39, v21, v6
	v_dual_add_f32 v51, v9, v6 :: v_dual_add_f32 v4, v42, v15
	v_dual_sub_f32 v8, v12, v18 :: v_dual_add_f32 v9, v13, v20
	s_delay_alu instid0(VALU_DEP_4)
	v_add_f32_e32 v16, v46, v40
	v_sub_f32_e32 v40, v40, v46
	v_add_f32_e32 v6, v47, v23
	v_dual_add_f32 v10, v18, v12 :: v_dual_sub_f32 v11, v20, v13
	v_dual_sub_f32 v12, v23, v47 :: v_dual_add_f32 v13, v45, v38
	v_dual_sub_f32 v14, v15, v42 :: v_dual_add_f32 v15, v41, v17
	;; [unrolled: 1-line block ×4, first 2 shown]
	v_dual_add_f32 v22, v22, v39 :: v_dual_sub_f32 v23, v43, v48
	v_sub_f32_e32 v38, v51, v108
	v_add_f32_e32 v39, v107, v80
	v_add_f32_e32 v41, v44, v49
	ds_store_2addr_b64 v103, v[0:1], v[4:5] offset1:7
	ds_store_2addr_b64 v103, v[6:7], v[8:9] offset0:14 offset1:21
	ds_store_2addr_b64 v103, v[10:11], v[12:13] offset0:28 offset1:35
	ds_store_b64 v103, v[14:15] offset:336
	ds_store_2addr_b64 v102, v[2:3], v[16:17] offset1:7
	ds_store_2addr_b64 v102, v[18:19], v[20:21] offset0:14 offset1:21
	ds_store_2addr_b64 v102, v[22:23], v[38:39] offset0:28 offset1:35
	ds_store_b64 v102, v[40:41] offset:336
	global_wb scope:SCOPE_SE
	s_wait_dscnt 0x0
	s_barrier_signal -1
	s_barrier_wait -1
	global_inv scope:SCOPE_SE
	ds_load_2addr_b64 v[0:3], v97 offset0:98 offset1:147
	ds_load_2addr_b64 v[4:7], v97 offset0:196 offset1:245
	;; [unrolled: 1-line block ×5, first 2 shown]
	v_mad_co_u64_u32 v[20:21], null, s5, v101, v[37:38]
	v_lshlrev_b64_e32 v[40:41], 3, v[95:96]
	s_wait_dscnt 0x3
	v_mul_f32_e32 v46, v35, v5
	v_mul_f32_e32 v44, v33, v1
	;; [unrolled: 1-line block ×3, first 2 shown]
	s_wait_dscnt 0x2
	v_mul_f32_e32 v48, v29, v9
	s_wait_dscnt 0x0
	v_dual_mul_f32 v50, v31, v13 :: v_dual_mul_f32 v95, v25, v16
	v_dual_fmac_f32 v44, v32, v0 :: v_dual_mul_f32 v103, v35, v7
	v_dual_fmac_f32 v102, v32, v2 :: v_dual_mul_f32 v47, v35, v4
	v_dual_mul_f32 v80, v25, v17 :: v_dual_mul_f32 v35, v35, v6
	s_delay_alu instid0(VALU_DEP_3) | instskip(SKIP_2) | instid1(VALU_DEP_4)
	v_dual_fmac_f32 v103, v34, v6 :: v_dual_fmac_f32 v48, v28, v8
	v_fmac_f32_e32 v50, v30, v12
	v_mul_f32_e32 v45, v33, v0
	v_dual_mul_f32 v33, v33, v2 :: v_dual_fmac_f32 v80, v24, v16
	v_fma_f32 v2, v34, v5, -v47
	v_fma_f32 v6, v24, v17, -v95
	v_mov_b32_e32 v37, v20
	ds_load_2addr_b64 v[20:23], v99 offset0:76 offset1:125
	v_mul_f32_e32 v106, v25, v19
	v_mul_f32_e32 v104, v29, v11
	v_dual_mul_f32 v105, v31, v15 :: v_dual_fmac_f32 v46, v34, v4
	s_delay_alu instid0(VALU_DEP_3) | instskip(SKIP_1) | instid1(VALU_DEP_4)
	v_dual_fmac_f32 v106, v24, v18 :: v_dual_mul_f32 v49, v29, v8
	v_mul_f32_e32 v29, v29, v10
	v_fmac_f32_e32 v104, v28, v10
	s_delay_alu instid0(VALU_DEP_4) | instskip(SKIP_4) | instid1(VALU_DEP_1)
	v_fmac_f32_e32 v105, v30, v14
	v_mul_f32_e32 v51, v31, v12
	v_dual_mul_f32 v31, v31, v14 :: v_dual_sub_f32 v16, v46, v80
	s_wait_dscnt 0x0
	v_mul_f32_e32 v96, v27, v21
	v_fmac_f32_e32 v96, v26, v20
	s_delay_alu instid0(VALU_DEP_1)
	v_dual_add_f32 v12, v44, v96 :: v_dual_mul_f32 v25, v25, v18
	v_sub_f32_e32 v18, v50, v48
	v_fma_f32 v8, v28, v11, -v29
	v_dual_mul_f32 v107, v27, v23 :: v_dual_sub_f32 v14, v44, v96
	v_mul_f32_e32 v101, v27, v20
	v_mul_f32_e32 v27, v27, v22
	v_fma_f32 v10, v24, v19, -v25
	s_delay_alu instid0(VALU_DEP_4)
	v_fmac_f32_e32 v107, v26, v22
	v_sub_f32_e32 v22, v103, v106
	v_fma_f32 v4, v28, v9, -v49
	v_sub_f32_e32 v24, v105, v104
	v_fma_f32 v9, v30, v15, -v31
	v_add_f32_e32 v15, v2, v6
	v_sub_f32_e32 v2, v2, v6
	v_add_f32_e32 v6, v48, v50
	v_fma_f32 v0, v32, v1, -v45
	v_fma_f32 v1, v32, v3, -v33
	;; [unrolled: 1-line block ×4, first 2 shown]
	v_lshlrev_b64_e32 v[42:43], 3, v[36:37]
	ds_load_2addr_b64 v[36:39], v97 offset1:49
	v_dual_add_f32 v28, v18, v16 :: v_dual_add_f32 v21, v3, v10
	v_dual_sub_f32 v3, v3, v10 :: v_dual_add_f32 v10, v104, v105
	v_fma_f32 v5, v30, v13, -v51
	v_fma_f32 v11, v26, v23, -v27
	v_dual_add_f32 v13, v0, v7 :: v_dual_sub_f32 v30, v18, v16
	v_sub_f32_e32 v0, v0, v7
	s_delay_alu instid0(VALU_DEP_4)
	v_dual_add_f32 v17, v4, v5 :: v_dual_sub_f32 v4, v5, v4
	v_dual_add_f32 v23, v8, v9 :: v_dual_sub_f32 v8, v9, v8
	v_dual_add_f32 v7, v46, v80 :: v_dual_sub_f32 v16, v16, v14
	v_dual_add_f32 v5, v102, v107 :: v_dual_add_f32 v44, v24, v22
	v_dual_add_f32 v19, v1, v11 :: v_dual_sub_f32 v46, v24, v22
	v_sub_f32_e32 v1, v1, v11
	v_add_f32_e32 v45, v8, v3
	v_add_f32_e32 v29, v4, v2
	v_sub_f32_e32 v47, v8, v3
	v_sub_f32_e32 v31, v4, v2
	v_dual_sub_f32 v4, v0, v4 :: v_dual_add_f32 v11, v103, v106
	v_dual_add_f32 v9, v7, v12 :: v_dual_sub_f32 v18, v14, v18
	v_add_f32_e32 v14, v28, v14
	v_mul_f32_e32 v28, 0x3f08b237, v30
	s_delay_alu instid0(VALU_DEP_4)
	v_sub_f32_e32 v34, v11, v5
	v_sub_f32_e32 v20, v102, v107
	;; [unrolled: 1-line block ×4, first 2 shown]
	v_mul_f32_e32 v30, 0x3f5ff5aa, v16
	v_fma_f32 v16, 0xbf5ff5aa, v16, -v28
	v_dual_sub_f32 v24, v20, v24 :: v_dual_add_f32 v25, v15, v13
	v_sub_f32_e32 v22, v22, v20
	v_dual_sub_f32 v7, v6, v7 :: v_dual_sub_f32 v48, v3, v1
	v_sub_f32_e32 v8, v1, v8
	v_add_f32_e32 v32, v11, v5
	v_add_f32_e32 v6, v6, v9
	v_dual_sub_f32 v27, v15, v13 :: v_dual_sub_f32 v2, v2, v0
	v_dual_sub_f32 v13, v13, v17 :: v_dual_add_f32 v20, v44, v20
	v_add_f32_e32 v33, v21, v19
	v_sub_f32_e32 v35, v21, v19
	v_sub_f32_e32 v5, v5, v10
	v_dual_sub_f32 v19, v19, v23 :: v_dual_fmac_f32 v30, 0x3eae86e6, v18
	v_dual_add_f32 v9, v17, v25 :: v_dual_fmac_f32 v16, 0xbee1c552, v14
	v_sub_f32_e32 v11, v10, v11
	v_dual_add_f32 v10, v10, v32 :: v_dual_sub_f32 v21, v23, v21
	v_sub_f32_e32 v15, v17, v15
	v_add_f32_e32 v32, v45, v1
	v_dual_add_f32 v17, v29, v0 :: v_dual_fmac_f32 v30, 0xbee1c552, v14
	s_wait_dscnt 0x0
	v_add_f32_e32 v0, v36, v6
	v_dual_mul_f32 v44, 0x3d64c772, v21 :: v_dual_mul_f32 v25, 0x3d64c772, v15
	v_add_f32_e32 v23, v23, v33
	s_delay_alu instid0(VALU_DEP_3)
	v_dual_add_f32 v1, v37, v9 :: v_dual_fmamk_f32 v6, v6, 0xbf955555, v0
	v_dual_mul_f32 v3, 0x3f4a47b2, v12 :: v_dual_mul_f32 v12, 0x3f4a47b2, v13
	v_mul_f32_e32 v13, 0x3d64c772, v7
	v_fma_f32 v25, 0x3f3bfb3b, v27, -v25
	global_wb scope:SCOPE_SE
	s_barrier_signal -1
	v_fmamk_f32 v15, v15, 0x3d64c772, v12
	v_fma_f32 v13, 0x3f3bfb3b, v26, -v13
	v_fma_f32 v12, 0xbf3bfb3b, v27, -v12
	v_fmamk_f32 v27, v18, 0xbeae86e6, v28
	s_barrier_wait -1
	global_inv scope:SCOPE_SE
	v_add_f32_e32 v13, v13, v6
	v_dual_mul_f32 v45, 0x3f08b237, v46 :: v_dual_mul_f32 v46, 0x3f08b237, v47
	v_mul_f32_e32 v29, 0x3f08b237, v31
	v_mul_f32_e32 v47, 0x3f5ff5aa, v22
	s_delay_alu instid0(VALU_DEP_2) | instskip(SKIP_2) | instid1(VALU_DEP_4)
	v_fma_f32 v28, 0xbf5ff5aa, v2, -v29
	v_fmac_f32_e32 v27, 0xbee1c552, v14
	v_fmamk_f32 v36, v4, 0xbeae86e6, v29
	v_fmac_f32_e32 v47, 0x3eae86e6, v24
	s_delay_alu instid0(VALU_DEP_4) | instskip(SKIP_1) | instid1(VALU_DEP_4)
	v_fmac_f32_e32 v28, 0xbee1c552, v17
	v_mul_f32_e32 v33, 0x3d64c772, v11
	v_fmac_f32_e32 v36, 0xbee1c552, v17
	v_fmamk_f32 v7, v7, 0x3d64c772, v3
	v_fmac_f32_e32 v47, 0xbee1c552, v20
	s_delay_alu instid0(VALU_DEP_4) | instskip(SKIP_4) | instid1(VALU_DEP_4)
	v_fma_f32 v18, 0x3f3bfb3b, v34, -v33
	v_fmamk_f32 v33, v8, 0xbeae86e6, v46
	v_mul_f32_e32 v31, 0x3f5ff5aa, v2
	v_add_f32_e32 v2, v38, v10
	v_dual_add_f32 v14, v7, v6 :: v_dual_mul_f32 v5, 0x3f4a47b2, v5
	v_fmac_f32_e32 v33, 0xbee1c552, v32
	v_mul_f32_e32 v49, 0x3f5ff5aa, v48
	v_fma_f32 v26, 0xbf3bfb3b, v26, -v3
	v_fmamk_f32 v29, v24, 0xbeae86e6, v45
	s_delay_alu instid0(VALU_DEP_3) | instskip(SKIP_1) | instid1(VALU_DEP_3)
	v_fmac_f32_e32 v49, 0x3eae86e6, v8
	v_dual_fmamk_f32 v8, v9, 0xbf955555, v1 :: v_dual_fmamk_f32 v9, v10, 0xbf955555, v2
	v_fmac_f32_e32 v29, 0xbee1c552, v20
	s_delay_alu instid0(VALU_DEP_2)
	v_dual_fmac_f32 v49, 0xbee1c552, v32 :: v_dual_add_f32 v24, v18, v9
	v_fmac_f32_e32 v31, 0x3eae86e6, v4
	v_fmamk_f32 v4, v11, 0x3d64c772, v5
	v_fma_f32 v5, 0xbf3bfb3b, v34, -v5
	v_fma_f32 v34, 0xbf5ff5aa, v22, -v45
	;; [unrolled: 1-line block ×3, first 2 shown]
	v_fmac_f32_e32 v31, 0xbee1c552, v17
	v_add_f32_e32 v17, v25, v8
	s_delay_alu instid0(VALU_DEP_4) | instskip(SKIP_3) | instid1(VALU_DEP_3)
	v_fmac_f32_e32 v34, 0xbee1c552, v20
	v_dual_add_f32 v20, v26, v6 :: v_dual_mul_f32 v19, 0x3f4a47b2, v19
	v_dual_add_f32 v3, v39, v23 :: v_dual_fmac_f32 v22, 0xbee1c552, v32
	v_add_f32_e32 v26, v4, v9
	v_dual_add_f32 v6, v31, v20 :: v_dual_fmamk_f32 v11, v21, 0x3d64c772, v19
	v_fma_f32 v21, 0x3f3bfb3b, v35, -v44
	v_fma_f32 v19, 0xbf3bfb3b, v35, -v19
	v_dual_add_f32 v35, v5, v9 :: v_dual_fmamk_f32 v10, v23, 0xbf955555, v3
	v_add_f32_e32 v23, v12, v8
	v_sub_f32_e32 v12, v20, v31
	v_sub_f32_e32 v20, v24, v22
	s_delay_alu instid0(VALU_DEP_4) | instskip(SKIP_3) | instid1(VALU_DEP_4)
	v_dual_add_f32 v18, v49, v35 :: v_dual_add_f32 v15, v15, v8
	v_dual_add_f32 v37, v19, v10 :: v_dual_add_f32 v22, v22, v24
	v_add_f32_e32 v32, v11, v10
	v_add_f32_e32 v25, v21, v10
	v_dual_add_f32 v4, v36, v14 :: v_dual_sub_f32 v5, v15, v27
	v_dual_sub_f32 v7, v23, v30 :: v_dual_sub_f32 v8, v13, v28
	v_add_f32_e32 v9, v16, v17
	v_dual_add_f32 v10, v28, v13 :: v_dual_sub_f32 v11, v17, v16
	v_add_f32_e32 v13, v30, v23
	v_dual_sub_f32 v14, v14, v36 :: v_dual_add_f32 v15, v27, v15
	v_dual_add_f32 v16, v33, v26 :: v_dual_sub_f32 v17, v32, v29
	v_sub_f32_e32 v19, v37, v47
	v_add_f32_e32 v21, v34, v25
	v_dual_sub_f32 v23, v25, v34 :: v_dual_sub_f32 v24, v35, v49
	v_add_f32_e32 v25, v47, v37
	v_dual_sub_f32 v26, v26, v33 :: v_dual_add_f32 v27, v29, v32
	ds_store_2addr_b64 v97, v[0:1], v[4:5] offset1:49
	ds_store_2addr_b64 v97, v[6:7], v[8:9] offset0:98 offset1:147
	ds_store_2addr_b64 v97, v[10:11], v[12:13] offset0:196 offset1:245
	;; [unrolled: 1-line block ×6, first 2 shown]
	global_wb scope:SCOPE_SE
	s_wait_dscnt 0x0
	s_barrier_signal -1
	s_barrier_wait -1
	global_inv scope:SCOPE_SE
	ds_load_2addr_b64 v[4:7], v98 offset0:38 offset1:87
	ds_load_2addr_b64 v[8:11], v98 offset0:136 offset1:185
	;; [unrolled: 1-line block ×4, first 2 shown]
	ds_load_2addr_b64 v[20:23], v97 offset1:49
	ds_load_2addr_b64 v[24:27], v97 offset0:98 offset1:147
	ds_load_2addr_b64 v[28:31], v97 offset0:196 offset1:245
	v_add_co_u32 v0, vcc_lo, s0, v40
	s_wait_alu 0xfffd
	v_add_co_ci_u32_e32 v1, vcc_lo, s1, v41, vcc_lo
	s_mul_u64 s[0:1], s[4:5], 0x310
	s_delay_alu instid0(VALU_DEP_2) | instskip(SKIP_1) | instid1(VALU_DEP_2)
	v_add_co_u32 v0, vcc_lo, v0, v42
	s_wait_alu 0xfffd
	v_add_co_ci_u32_e32 v1, vcc_lo, v1, v43, vcc_lo
	s_wait_alu 0xfffe
	s_delay_alu instid0(VALU_DEP_2) | instskip(SKIP_1) | instid1(VALU_DEP_2)
	v_add_co_u32 v2, vcc_lo, v0, s0
	s_wait_alu 0xfffd
	v_add_co_ci_u32_e32 v3, vcc_lo, s1, v1, vcc_lo
	s_wait_dscnt 0x6
	v_mul_f32_e32 v32, v94, v7
	v_mul_f32_e32 v33, v94, v6
	s_wait_dscnt 0x5
	v_mul_f32_e32 v34, v82, v9
	v_dual_mul_f32 v35, v82, v8 :: v_dual_mul_f32 v36, v84, v11
	s_wait_dscnt 0x4
	v_dual_mul_f32 v37, v84, v10 :: v_dual_mul_f32 v38, v86, v13
	s_wait_dscnt 0x3
	v_dual_mul_f32 v39, v86, v12 :: v_dual_mul_f32 v44, v92, v19
	v_mul_f32_e32 v45, v92, v18
	v_mul_f32_e32 v40, v88, v15
	v_dual_mul_f32 v41, v88, v14 :: v_dual_mul_f32 v42, v90, v17
	v_dual_mul_f32 v43, v90, v16 :: v_dual_fmac_f32 v32, v93, v6
	v_fma_f32 v7, v93, v7, -v33
	v_fmac_f32_e32 v34, v81, v8
	v_fma_f32 v9, v81, v9, -v35
	v_fmac_f32_e32 v36, v83, v10
	;; [unrolled: 2-line block ×6, first 2 shown]
	v_fma_f32 v17, v89, v17, -v43
	s_wait_dscnt 0x2
	v_dual_sub_f32 v6, v20, v32 :: v_dual_sub_f32 v7, v21, v7
	v_dual_sub_f32 v8, v22, v34 :: v_dual_sub_f32 v9, v23, v9
	s_wait_dscnt 0x1
	v_dual_sub_f32 v10, v24, v36 :: v_dual_sub_f32 v11, v25, v11
	v_dual_sub_f32 v12, v26, v38 :: v_dual_sub_f32 v13, v27, v13
	;; [unrolled: 1-line block ×3, first 2 shown]
	s_wait_dscnt 0x0
	v_dual_sub_f32 v14, v28, v40 :: v_dual_sub_f32 v15, v29, v15
	v_dual_sub_f32 v16, v30, v42 :: v_dual_sub_f32 v17, v31, v17
	v_fma_f32 v20, v20, 2.0, -v6
	v_fma_f32 v21, v21, 2.0, -v7
	;; [unrolled: 1-line block ×14, first 2 shown]
	ds_store_b64 v97, v[6:7] offset:2744
	ds_store_2addr_b64 v97, v[20:21], v[22:23] offset1:49
	ds_store_2addr_b64 v98, v[8:9], v[10:11] offset0:136 offset1:185
	ds_store_2addr_b64 v97, v[24:25], v[26:27] offset0:98 offset1:147
	;; [unrolled: 1-line block ×4, first 2 shown]
	ds_store_b64 v97, v[4:5] offset:2352
	ds_store_2addr_b64 v99, v[16:17], v[18:19] offset0:76 offset1:125
	global_wb scope:SCOPE_SE
	s_wait_dscnt 0x0
	s_barrier_signal -1
	s_barrier_wait -1
	global_inv scope:SCOPE_SE
	ds_load_2addr_b64 v[4:7], v97 offset1:49
	ds_load_2addr_b64 v[8:11], v97 offset0:98 offset1:147
	ds_load_2addr_b64 v[12:15], v97 offset0:196 offset1:245
	;; [unrolled: 1-line block ×6, first 2 shown]
	v_add_co_u32 v32, vcc_lo, v2, s0
	s_wait_alu 0xfffd
	v_add_co_ci_u32_e32 v33, vcc_lo, s1, v3, vcc_lo
	s_delay_alu instid0(VALU_DEP_2) | instskip(SKIP_1) | instid1(VALU_DEP_2)
	v_add_co_u32 v34, vcc_lo, v32, s0
	s_wait_alu 0xfffd
	v_add_co_ci_u32_e32 v35, vcc_lo, s1, v33, vcc_lo
	s_delay_alu instid0(VALU_DEP_2) | instskip(SKIP_1) | instid1(VALU_DEP_2)
	v_add_co_u32 v36, vcc_lo, v34, s0
	s_wait_alu 0xfffd
	v_add_co_ci_u32_e32 v37, vcc_lo, s1, v35, vcc_lo
	s_wait_dscnt 0x6
	v_mul_f32_e32 v38, v53, v5
	v_mul_f32_e32 v39, v53, v4
	s_wait_dscnt 0x5
	v_mul_f32_e32 v40, v65, v9
	s_wait_dscnt 0x4
	v_dual_mul_f32 v41, v65, v8 :: v_dual_mul_f32 v42, v55, v13
	v_mul_f32_e32 v43, v55, v12
	s_wait_dscnt 0x3
	v_mul_f32_e32 v44, v71, v17
	s_wait_dscnt 0x2
	v_dual_mul_f32 v45, v71, v16 :: v_dual_mul_f32 v46, v57, v21
	v_mul_f32_e32 v47, v57, v20
	s_wait_dscnt 0x1
	v_mul_f32_e32 v48, v77, v25
	v_mul_f32_e32 v49, v77, v24
	;; [unrolled: 1-line block ×3, first 2 shown]
	v_dual_mul_f32 v55, v63, v6 :: v_dual_fmac_f32 v38, v52, v4
	s_delay_alu instid0(VALU_DEP_4)
	v_fmac_f32_e32 v48, v76, v24
	v_fma_f32 v39, v52, v5, -v39
	s_wait_dscnt 0x0
	v_mul_f32_e32 v50, v59, v29
	v_mul_f32_e32 v51, v59, v28
	;; [unrolled: 1-line block ×3, first 2 shown]
	v_dual_mul_f32 v59, v61, v10 :: v_dual_fmac_f32 v40, v64, v8
	v_fma_f32 v41, v64, v9, -v41
	v_mul_f32_e32 v61, v69, v15
	v_dual_mul_f32 v63, v69, v14 :: v_dual_fmac_f32 v42, v54, v12
	v_fma_f32 v43, v54, v13, -v43
	v_mul_f32_e32 v65, v67, v19
	v_dual_mul_f32 v67, v67, v18 :: v_dual_fmac_f32 v44, v70, v16
	v_fma_f32 v45, v70, v17, -v45
	v_mul_f32_e32 v69, v75, v23
	v_dual_mul_f32 v71, v75, v22 :: v_dual_fmac_f32 v46, v56, v20
	v_fma_f32 v47, v56, v21, -v47
	v_mul_f32_e32 v75, v73, v27
	v_mul_f32_e32 v73, v73, v26
	v_fma_f32 v49, v76, v25, -v49
	v_fmac_f32_e32 v53, v62, v6
	v_fma_f32 v52, v62, v7, -v55
	v_cvt_f64_f32_e32 v[4:5], v38
	v_cvt_f64_f32_e32 v[6:7], v39
	v_mul_f32_e32 v77, v79, v31
	v_dual_mul_f32 v79, v79, v30 :: v_dual_fmac_f32 v50, v58, v28
	v_fma_f32 v51, v58, v29, -v51
	v_fmac_f32_e32 v57, v60, v10
	v_fma_f32 v54, v60, v11, -v59
	v_cvt_f64_f32_e32 v[8:9], v40
	v_cvt_f64_f32_e32 v[10:11], v41
	v_fmac_f32_e32 v61, v68, v14
	v_fma_f32 v55, v68, v15, -v63
	v_cvt_f64_f32_e32 v[12:13], v42
	v_cvt_f64_f32_e32 v[14:15], v43
	;; [unrolled: 4-line block ×6, first 2 shown]
	v_cvt_f64_f32_e32 v[38:39], v53
	v_cvt_f64_f32_e32 v[40:41], v52
	v_cvt_f64_f32_e32 v[42:43], v57
	v_cvt_f64_f32_e32 v[44:45], v54
	v_cvt_f64_f32_e32 v[46:47], v61
	v_cvt_f64_f32_e32 v[48:49], v55
	v_cvt_f64_f32_e32 v[50:51], v65
	v_cvt_f64_f32_e32 v[52:53], v56
	v_cvt_f64_f32_e32 v[54:55], v69
	v_cvt_f64_f32_e32 v[56:57], v58
	v_cvt_f64_f32_e32 v[58:59], v75
	v_cvt_f64_f32_e32 v[60:61], v60
	v_cvt_f64_f32_e32 v[62:63], v77
	v_cvt_f64_f32_e32 v[64:65], v64
	v_mul_f64_e32 v[4:5], s[2:3], v[4:5]
	v_mul_f64_e32 v[6:7], s[2:3], v[6:7]
	;; [unrolled: 1-line block ×4, first 2 shown]
	v_add_co_u32 v66, vcc_lo, v36, s0
	v_mul_f64_e32 v[12:13], s[2:3], v[12:13]
	v_mul_f64_e32 v[14:15], s[2:3], v[14:15]
	s_wait_alu 0xfffd
	v_add_co_ci_u32_e32 v67, vcc_lo, s1, v37, vcc_lo
	v_mul_f64_e32 v[16:17], s[2:3], v[16:17]
	v_mul_f64_e32 v[18:19], s[2:3], v[18:19]
	v_add_co_u32 v68, vcc_lo, v66, s0
	v_mul_f64_e32 v[20:21], s[2:3], v[20:21]
	v_mul_f64_e32 v[22:23], s[2:3], v[22:23]
	s_wait_alu 0xfffd
	v_add_co_ci_u32_e32 v69, vcc_lo, s1, v67, vcc_lo
	v_mul_f64_e32 v[24:25], s[2:3], v[24:25]
	v_mul_f64_e32 v[26:27], s[2:3], v[26:27]
	s_delay_alu instid0(VALU_DEP_3)
	v_mad_co_u64_u32 v[70:71], null, 0xffffef28, s4, v[68:69]
	v_mul_f64_e32 v[28:29], s[2:3], v[28:29]
	v_mul_f64_e32 v[30:31], s[2:3], v[30:31]
	;; [unrolled: 1-line block ×16, first 2 shown]
	v_cvt_f32_f64_e32 v4, v[4:5]
	v_cvt_f32_f64_e32 v5, v[6:7]
	v_cvt_f32_f64_e32 v6, v[8:9]
	v_cvt_f32_f64_e32 v7, v[10:11]
	s_mul_i32 s2, s5, 0xffffef28
	v_cvt_f32_f64_e32 v8, v[12:13]
	v_cvt_f32_f64_e32 v9, v[14:15]
	s_wait_alu 0xfffe
	s_sub_co_i32 s2, s2, s4
	v_add_co_u32 v72, vcc_lo, v70, s0
	v_cvt_f32_f64_e32 v10, v[16:17]
	v_cvt_f32_f64_e32 v11, v[18:19]
	s_wait_alu 0xfffe
	v_add_nc_u32_e32 v71, s2, v71
	v_cvt_f32_f64_e32 v12, v[20:21]
	v_cvt_f32_f64_e32 v13, v[22:23]
	;; [unrolled: 1-line block ×4, first 2 shown]
	s_wait_alu 0xfffd
	v_add_co_ci_u32_e32 v73, vcc_lo, s1, v71, vcc_lo
	v_cvt_f32_f64_e32 v16, v[28:29]
	v_cvt_f32_f64_e32 v17, v[30:31]
	;; [unrolled: 1-line block ×16, first 2 shown]
	v_add_co_u32 v38, vcc_lo, v72, s0
	s_wait_alu 0xfffd
	v_add_co_ci_u32_e32 v39, vcc_lo, s1, v73, vcc_lo
	s_delay_alu instid0(VALU_DEP_2) | instskip(SKIP_1) | instid1(VALU_DEP_2)
	v_add_co_u32 v40, vcc_lo, v38, s0
	s_wait_alu 0xfffd
	v_add_co_ci_u32_e32 v41, vcc_lo, s1, v39, vcc_lo
	s_delay_alu instid0(VALU_DEP_2) | instskip(SKIP_1) | instid1(VALU_DEP_2)
	;; [unrolled: 4-line block ×4, first 2 shown]
	v_add_co_u32 v46, vcc_lo, v44, s0
	s_wait_alu 0xfffd
	v_add_co_ci_u32_e32 v47, vcc_lo, s1, v45, vcc_lo
	s_clause 0x4
	global_store_b64 v[0:1], v[4:5], off
	global_store_b64 v[2:3], v[6:7], off
	;; [unrolled: 1-line block ×14, first 2 shown]
.LBB0_2:
	s_nop 0
	s_sendmsg sendmsg(MSG_DEALLOC_VGPRS)
	s_endpgm
	.section	.rodata,"a",@progbits
	.p2align	6, 0x0
	.amdhsa_kernel bluestein_single_fwd_len686_dim1_sp_op_CI_CI
		.amdhsa_group_segment_fixed_size 5488
		.amdhsa_private_segment_fixed_size 0
		.amdhsa_kernarg_size 104
		.amdhsa_user_sgpr_count 2
		.amdhsa_user_sgpr_dispatch_ptr 0
		.amdhsa_user_sgpr_queue_ptr 0
		.amdhsa_user_sgpr_kernarg_segment_ptr 1
		.amdhsa_user_sgpr_dispatch_id 0
		.amdhsa_user_sgpr_private_segment_size 0
		.amdhsa_wavefront_size32 1
		.amdhsa_uses_dynamic_stack 0
		.amdhsa_enable_private_segment 0
		.amdhsa_system_sgpr_workgroup_id_x 1
		.amdhsa_system_sgpr_workgroup_id_y 0
		.amdhsa_system_sgpr_workgroup_id_z 0
		.amdhsa_system_sgpr_workgroup_info 0
		.amdhsa_system_vgpr_workitem_id 0
		.amdhsa_next_free_vgpr 138
		.amdhsa_next_free_sgpr 20
		.amdhsa_reserve_vcc 1
		.amdhsa_float_round_mode_32 0
		.amdhsa_float_round_mode_16_64 0
		.amdhsa_float_denorm_mode_32 3
		.amdhsa_float_denorm_mode_16_64 3
		.amdhsa_fp16_overflow 0
		.amdhsa_workgroup_processor_mode 1
		.amdhsa_memory_ordered 1
		.amdhsa_forward_progress 0
		.amdhsa_round_robin_scheduling 0
		.amdhsa_exception_fp_ieee_invalid_op 0
		.amdhsa_exception_fp_denorm_src 0
		.amdhsa_exception_fp_ieee_div_zero 0
		.amdhsa_exception_fp_ieee_overflow 0
		.amdhsa_exception_fp_ieee_underflow 0
		.amdhsa_exception_fp_ieee_inexact 0
		.amdhsa_exception_int_div_zero 0
	.end_amdhsa_kernel
	.text
.Lfunc_end0:
	.size	bluestein_single_fwd_len686_dim1_sp_op_CI_CI, .Lfunc_end0-bluestein_single_fwd_len686_dim1_sp_op_CI_CI
                                        ; -- End function
	.section	.AMDGPU.csdata,"",@progbits
; Kernel info:
; codeLenInByte = 12484
; NumSgprs: 22
; NumVgprs: 138
; ScratchSize: 0
; MemoryBound: 0
; FloatMode: 240
; IeeeMode: 1
; LDSByteSize: 5488 bytes/workgroup (compile time only)
; SGPRBlocks: 2
; VGPRBlocks: 17
; NumSGPRsForWavesPerEU: 22
; NumVGPRsForWavesPerEU: 138
; Occupancy: 10
; WaveLimiterHint : 1
; COMPUTE_PGM_RSRC2:SCRATCH_EN: 0
; COMPUTE_PGM_RSRC2:USER_SGPR: 2
; COMPUTE_PGM_RSRC2:TRAP_HANDLER: 0
; COMPUTE_PGM_RSRC2:TGID_X_EN: 1
; COMPUTE_PGM_RSRC2:TGID_Y_EN: 0
; COMPUTE_PGM_RSRC2:TGID_Z_EN: 0
; COMPUTE_PGM_RSRC2:TIDIG_COMP_CNT: 0
	.text
	.p2alignl 7, 3214868480
	.fill 96, 4, 3214868480
	.type	__hip_cuid_ec1e8c200ab62c78,@object ; @__hip_cuid_ec1e8c200ab62c78
	.section	.bss,"aw",@nobits
	.globl	__hip_cuid_ec1e8c200ab62c78
__hip_cuid_ec1e8c200ab62c78:
	.byte	0                               ; 0x0
	.size	__hip_cuid_ec1e8c200ab62c78, 1

	.ident	"AMD clang version 19.0.0git (https://github.com/RadeonOpenCompute/llvm-project roc-6.4.0 25133 c7fe45cf4b819c5991fe208aaa96edf142730f1d)"
	.section	".note.GNU-stack","",@progbits
	.addrsig
	.addrsig_sym __hip_cuid_ec1e8c200ab62c78
	.amdgpu_metadata
---
amdhsa.kernels:
  - .args:
      - .actual_access:  read_only
        .address_space:  global
        .offset:         0
        .size:           8
        .value_kind:     global_buffer
      - .actual_access:  read_only
        .address_space:  global
        .offset:         8
        .size:           8
        .value_kind:     global_buffer
      - .actual_access:  read_only
        .address_space:  global
        .offset:         16
        .size:           8
        .value_kind:     global_buffer
      - .actual_access:  read_only
        .address_space:  global
        .offset:         24
        .size:           8
        .value_kind:     global_buffer
      - .actual_access:  read_only
        .address_space:  global
        .offset:         32
        .size:           8
        .value_kind:     global_buffer
      - .offset:         40
        .size:           8
        .value_kind:     by_value
      - .address_space:  global
        .offset:         48
        .size:           8
        .value_kind:     global_buffer
      - .address_space:  global
        .offset:         56
        .size:           8
        .value_kind:     global_buffer
      - .address_space:  global
        .offset:         64
        .size:           8
        .value_kind:     global_buffer
      - .address_space:  global
        .offset:         72
        .size:           8
        .value_kind:     global_buffer
      - .offset:         80
        .size:           4
        .value_kind:     by_value
      - .address_space:  global
        .offset:         88
        .size:           8
        .value_kind:     global_buffer
      - .address_space:  global
        .offset:         96
        .size:           8
        .value_kind:     global_buffer
    .group_segment_fixed_size: 5488
    .kernarg_segment_align: 8
    .kernarg_segment_size: 104
    .language:       OpenCL C
    .language_version:
      - 2
      - 0
    .max_flat_workgroup_size: 49
    .name:           bluestein_single_fwd_len686_dim1_sp_op_CI_CI
    .private_segment_fixed_size: 0
    .sgpr_count:     22
    .sgpr_spill_count: 0
    .symbol:         bluestein_single_fwd_len686_dim1_sp_op_CI_CI.kd
    .uniform_work_group_size: 1
    .uses_dynamic_stack: false
    .vgpr_count:     138
    .vgpr_spill_count: 0
    .wavefront_size: 32
    .workgroup_processor_mode: 1
amdhsa.target:   amdgcn-amd-amdhsa--gfx1201
amdhsa.version:
  - 1
  - 2
...

	.end_amdgpu_metadata
